;; amdgpu-corpus repo=ROCm/rocFFT kind=compiled arch=gfx1030 opt=O3
	.text
	.amdgcn_target "amdgcn-amd-amdhsa--gfx1030"
	.amdhsa_code_object_version 6
	.protected	fft_rtc_back_len3125_factors_5_5_5_5_5_wgs_125_tpt_125_halfLds_half_op_CI_CI_sbrr_dirReg ; -- Begin function fft_rtc_back_len3125_factors_5_5_5_5_5_wgs_125_tpt_125_halfLds_half_op_CI_CI_sbrr_dirReg
	.globl	fft_rtc_back_len3125_factors_5_5_5_5_5_wgs_125_tpt_125_halfLds_half_op_CI_CI_sbrr_dirReg
	.p2align	8
	.type	fft_rtc_back_len3125_factors_5_5_5_5_5_wgs_125_tpt_125_halfLds_half_op_CI_CI_sbrr_dirReg,@function
fft_rtc_back_len3125_factors_5_5_5_5_5_wgs_125_tpt_125_halfLds_half_op_CI_CI_sbrr_dirReg: ; @fft_rtc_back_len3125_factors_5_5_5_5_5_wgs_125_tpt_125_halfLds_half_op_CI_CI_sbrr_dirReg
; %bb.0:
	s_clause 0x2
	s_load_dwordx4 s[16:19], s[4:5], 0x18
	s_load_dwordx4 s[12:15], s[4:5], 0x0
	;; [unrolled: 1-line block ×3, first 2 shown]
	v_mul_u32_u24_e32 v1, 0x20d, v0
	v_mov_b32_e32 v3, 0
	s_waitcnt lgkmcnt(0)
	s_load_dwordx2 s[20:21], s[16:17], 0x0
	s_load_dwordx2 s[2:3], s[18:19], 0x0
	v_cmp_lt_u64_e64 s0, s[14:15], 2
	v_add_nc_u32_sdwa v5, s6, v1 dst_sel:DWORD dst_unused:UNUSED_PAD src0_sel:DWORD src1_sel:WORD_1
	v_mov_b32_e32 v1, 0
	v_mov_b32_e32 v6, v3
	;; [unrolled: 1-line block ×3, first 2 shown]
	s_and_b32 vcc_lo, exec_lo, s0
	s_cbranch_vccnz .LBB0_8
; %bb.1:
	s_load_dwordx2 s[0:1], s[4:5], 0x10
	v_mov_b32_e32 v1, 0
	v_mov_b32_e32 v2, 0
	s_add_u32 s6, s18, 8
	s_addc_u32 s7, s19, 0
	s_add_u32 s22, s16, 8
	s_addc_u32 s23, s17, 0
	v_mov_b32_e32 v21, v2
	v_mov_b32_e32 v20, v1
	s_mov_b64 s[26:27], 1
	s_waitcnt lgkmcnt(0)
	s_add_u32 s24, s0, 8
	s_addc_u32 s25, s1, 0
.LBB0_2:                                ; =>This Inner Loop Header: Depth=1
	s_load_dwordx2 s[28:29], s[24:25], 0x0
                                        ; implicit-def: $vgpr22_vgpr23
	s_mov_b32 s0, exec_lo
	s_waitcnt lgkmcnt(0)
	v_or_b32_e32 v4, s29, v6
	v_cmpx_ne_u64_e32 0, v[3:4]
	s_xor_b32 s1, exec_lo, s0
	s_cbranch_execz .LBB0_4
; %bb.3:                                ;   in Loop: Header=BB0_2 Depth=1
	v_cvt_f32_u32_e32 v4, s28
	v_cvt_f32_u32_e32 v7, s29
	s_sub_u32 s0, 0, s28
	s_subb_u32 s30, 0, s29
	v_fmac_f32_e32 v4, 0x4f800000, v7
	v_rcp_f32_e32 v4, v4
	v_mul_f32_e32 v4, 0x5f7ffffc, v4
	v_mul_f32_e32 v7, 0x2f800000, v4
	v_trunc_f32_e32 v7, v7
	v_fmac_f32_e32 v4, 0xcf800000, v7
	v_cvt_u32_f32_e32 v7, v7
	v_cvt_u32_f32_e32 v4, v4
	v_mul_lo_u32 v8, s0, v7
	v_mul_hi_u32 v9, s0, v4
	v_mul_lo_u32 v10, s30, v4
	v_add_nc_u32_e32 v8, v9, v8
	v_mul_lo_u32 v9, s0, v4
	v_add_nc_u32_e32 v8, v8, v10
	v_mul_hi_u32 v10, v4, v9
	v_mul_lo_u32 v11, v4, v8
	v_mul_hi_u32 v12, v4, v8
	v_mul_hi_u32 v13, v7, v9
	v_mul_lo_u32 v9, v7, v9
	v_mul_hi_u32 v14, v7, v8
	v_mul_lo_u32 v8, v7, v8
	v_add_co_u32 v10, vcc_lo, v10, v11
	v_add_co_ci_u32_e32 v11, vcc_lo, 0, v12, vcc_lo
	v_add_co_u32 v9, vcc_lo, v10, v9
	v_add_co_ci_u32_e32 v9, vcc_lo, v11, v13, vcc_lo
	v_add_co_ci_u32_e32 v10, vcc_lo, 0, v14, vcc_lo
	v_add_co_u32 v8, vcc_lo, v9, v8
	v_add_co_ci_u32_e32 v9, vcc_lo, 0, v10, vcc_lo
	v_add_co_u32 v4, vcc_lo, v4, v8
	v_add_co_ci_u32_e32 v7, vcc_lo, v7, v9, vcc_lo
	v_mul_hi_u32 v8, s0, v4
	v_mul_lo_u32 v10, s30, v4
	v_mul_lo_u32 v9, s0, v7
	v_add_nc_u32_e32 v8, v8, v9
	v_mul_lo_u32 v9, s0, v4
	v_add_nc_u32_e32 v8, v8, v10
	v_mul_hi_u32 v10, v4, v9
	v_mul_lo_u32 v11, v4, v8
	v_mul_hi_u32 v12, v4, v8
	v_mul_hi_u32 v13, v7, v9
	v_mul_lo_u32 v9, v7, v9
	v_mul_hi_u32 v14, v7, v8
	v_mul_lo_u32 v8, v7, v8
	v_add_co_u32 v10, vcc_lo, v10, v11
	v_add_co_ci_u32_e32 v11, vcc_lo, 0, v12, vcc_lo
	v_add_co_u32 v9, vcc_lo, v10, v9
	v_add_co_ci_u32_e32 v9, vcc_lo, v11, v13, vcc_lo
	v_add_co_ci_u32_e32 v10, vcc_lo, 0, v14, vcc_lo
	v_add_co_u32 v8, vcc_lo, v9, v8
	v_add_co_ci_u32_e32 v9, vcc_lo, 0, v10, vcc_lo
	v_add_co_u32 v4, vcc_lo, v4, v8
	v_add_co_ci_u32_e32 v11, vcc_lo, v7, v9, vcc_lo
	v_mul_hi_u32 v13, v5, v4
	v_mad_u64_u32 v[9:10], null, v6, v4, 0
	v_mad_u64_u32 v[7:8], null, v5, v11, 0
	v_mad_u64_u32 v[11:12], null, v6, v11, 0
	v_add_co_u32 v4, vcc_lo, v13, v7
	v_add_co_ci_u32_e32 v7, vcc_lo, 0, v8, vcc_lo
	v_add_co_u32 v4, vcc_lo, v4, v9
	v_add_co_ci_u32_e32 v4, vcc_lo, v7, v10, vcc_lo
	v_add_co_ci_u32_e32 v7, vcc_lo, 0, v12, vcc_lo
	v_add_co_u32 v4, vcc_lo, v4, v11
	v_add_co_ci_u32_e32 v9, vcc_lo, 0, v7, vcc_lo
	v_mul_lo_u32 v10, s29, v4
	v_mad_u64_u32 v[7:8], null, s28, v4, 0
	v_mul_lo_u32 v11, s28, v9
	v_sub_co_u32 v7, vcc_lo, v5, v7
	v_add3_u32 v8, v8, v11, v10
	v_sub_nc_u32_e32 v10, v6, v8
	v_subrev_co_ci_u32_e64 v10, s0, s29, v10, vcc_lo
	v_add_co_u32 v11, s0, v4, 2
	v_add_co_ci_u32_e64 v12, s0, 0, v9, s0
	v_sub_co_u32 v13, s0, v7, s28
	v_sub_co_ci_u32_e32 v8, vcc_lo, v6, v8, vcc_lo
	v_subrev_co_ci_u32_e64 v10, s0, 0, v10, s0
	v_cmp_le_u32_e32 vcc_lo, s28, v13
	v_cmp_eq_u32_e64 s0, s29, v8
	v_cndmask_b32_e64 v13, 0, -1, vcc_lo
	v_cmp_le_u32_e32 vcc_lo, s29, v10
	v_cndmask_b32_e64 v14, 0, -1, vcc_lo
	v_cmp_le_u32_e32 vcc_lo, s28, v7
	;; [unrolled: 2-line block ×3, first 2 shown]
	v_cndmask_b32_e64 v15, 0, -1, vcc_lo
	v_cmp_eq_u32_e32 vcc_lo, s29, v10
	v_cndmask_b32_e64 v7, v15, v7, s0
	v_cndmask_b32_e32 v10, v14, v13, vcc_lo
	v_add_co_u32 v13, vcc_lo, v4, 1
	v_add_co_ci_u32_e32 v14, vcc_lo, 0, v9, vcc_lo
	v_cmp_ne_u32_e32 vcc_lo, 0, v10
	v_cndmask_b32_e32 v8, v14, v12, vcc_lo
	v_cndmask_b32_e32 v10, v13, v11, vcc_lo
	v_cmp_ne_u32_e32 vcc_lo, 0, v7
	v_cndmask_b32_e32 v23, v9, v8, vcc_lo
	v_cndmask_b32_e32 v22, v4, v10, vcc_lo
.LBB0_4:                                ;   in Loop: Header=BB0_2 Depth=1
	s_andn2_saveexec_b32 s0, s1
	s_cbranch_execz .LBB0_6
; %bb.5:                                ;   in Loop: Header=BB0_2 Depth=1
	v_cvt_f32_u32_e32 v4, s28
	s_sub_i32 s1, 0, s28
	v_mov_b32_e32 v23, v3
	v_rcp_iflag_f32_e32 v4, v4
	v_mul_f32_e32 v4, 0x4f7ffffe, v4
	v_cvt_u32_f32_e32 v4, v4
	v_mul_lo_u32 v7, s1, v4
	v_mul_hi_u32 v7, v4, v7
	v_add_nc_u32_e32 v4, v4, v7
	v_mul_hi_u32 v4, v5, v4
	v_mul_lo_u32 v7, v4, s28
	v_add_nc_u32_e32 v8, 1, v4
	v_sub_nc_u32_e32 v7, v5, v7
	v_subrev_nc_u32_e32 v9, s28, v7
	v_cmp_le_u32_e32 vcc_lo, s28, v7
	v_cndmask_b32_e32 v7, v7, v9, vcc_lo
	v_cndmask_b32_e32 v4, v4, v8, vcc_lo
	v_cmp_le_u32_e32 vcc_lo, s28, v7
	v_add_nc_u32_e32 v8, 1, v4
	v_cndmask_b32_e32 v22, v4, v8, vcc_lo
.LBB0_6:                                ;   in Loop: Header=BB0_2 Depth=1
	s_or_b32 exec_lo, exec_lo, s0
	v_mul_lo_u32 v4, v23, s28
	v_mul_lo_u32 v9, v22, s29
	s_load_dwordx2 s[0:1], s[22:23], 0x0
	v_mad_u64_u32 v[7:8], null, v22, s28, 0
	s_load_dwordx2 s[28:29], s[6:7], 0x0
	s_add_u32 s26, s26, 1
	s_addc_u32 s27, s27, 0
	s_add_u32 s6, s6, 8
	s_addc_u32 s7, s7, 0
	s_add_u32 s22, s22, 8
	v_add3_u32 v4, v8, v9, v4
	v_sub_co_u32 v5, vcc_lo, v5, v7
	s_addc_u32 s23, s23, 0
	s_add_u32 s24, s24, 8
	v_sub_co_ci_u32_e32 v4, vcc_lo, v6, v4, vcc_lo
	s_addc_u32 s25, s25, 0
	s_waitcnt lgkmcnt(0)
	v_mul_lo_u32 v6, s0, v4
	v_mul_lo_u32 v7, s1, v5
	v_mad_u64_u32 v[1:2], null, s0, v5, v[1:2]
	v_mul_lo_u32 v4, s28, v4
	v_mul_lo_u32 v8, s29, v5
	v_mad_u64_u32 v[20:21], null, s28, v5, v[20:21]
	v_cmp_ge_u64_e64 s0, s[26:27], s[14:15]
	v_add3_u32 v2, v7, v2, v6
	v_add3_u32 v21, v8, v21, v4
	s_and_b32 vcc_lo, exec_lo, s0
	s_cbranch_vccnz .LBB0_9
; %bb.7:                                ;   in Loop: Header=BB0_2 Depth=1
	v_mov_b32_e32 v5, v22
	v_mov_b32_e32 v6, v23
	s_branch .LBB0_2
.LBB0_8:
	v_mov_b32_e32 v21, v2
	v_mov_b32_e32 v23, v6
	;; [unrolled: 1-line block ×4, first 2 shown]
.LBB0_9:
	s_load_dwordx2 s[0:1], s[4:5], 0x28
	v_mul_hi_u32 v43, 0x20c49bb, v0
	s_lshl_b64 s[6:7], s[14:15], 3
                                        ; implicit-def: $vgpr24
                                        ; implicit-def: $vgpr25
                                        ; implicit-def: $vgpr26
                                        ; implicit-def: $vgpr27
                                        ; implicit-def: $vgpr28
	s_add_u32 s4, s18, s6
	s_addc_u32 s5, s19, s7
	s_waitcnt lgkmcnt(0)
	v_cmp_gt_u64_e32 vcc_lo, s[0:1], v[22:23]
	v_cmp_le_u64_e64 s0, s[0:1], v[22:23]
	s_and_saveexec_b32 s1, s0
	s_xor_b32 s0, exec_lo, s1
; %bb.10:
	v_mul_u32_u24_e32 v1, 0x7d, v43
                                        ; implicit-def: $vgpr43
	v_sub_nc_u32_e32 v24, v0, v1
                                        ; implicit-def: $vgpr0
                                        ; implicit-def: $vgpr1_vgpr2
	v_add_nc_u32_e32 v25, 0x7d, v24
	v_add_nc_u32_e32 v26, 0xfa, v24
	;; [unrolled: 1-line block ×4, first 2 shown]
; %bb.11:
	s_or_saveexec_b32 s1, s0
                                        ; implicit-def: $vgpr15
                                        ; implicit-def: $vgpr13
                                        ; implicit-def: $vgpr16
                                        ; implicit-def: $vgpr11
                                        ; implicit-def: $vgpr17
                                        ; implicit-def: $vgpr12
                                        ; implicit-def: $vgpr18
                                        ; implicit-def: $vgpr14
                                        ; implicit-def: $vgpr5
                                        ; implicit-def: $vgpr36
                                        ; implicit-def: $vgpr68
                                        ; implicit-def: $vgpr69
                                        ; implicit-def: $vgpr70
                                        ; implicit-def: $vgpr44
                                        ; implicit-def: $vgpr72
                                        ; implicit-def: $vgpr46
                                        ; implicit-def: $vgpr73
                                        ; implicit-def: $vgpr71
                                        ; implicit-def: $vgpr6
                                        ; implicit-def: $vgpr34
                                        ; implicit-def: $vgpr75
                                        ; implicit-def: $vgpr7
                                        ; implicit-def: $vgpr76
                                        ; implicit-def: $vgpr9
                                        ; implicit-def: $vgpr77
                                        ; implicit-def: $vgpr10
                                        ; implicit-def: $vgpr78
                                        ; implicit-def: $vgpr8
                                        ; implicit-def: $vgpr74
                                        ; implicit-def: $vgpr35
                                        ; implicit-def: $vgpr50
                                        ; implicit-def: $vgpr42
                                        ; implicit-def: $vgpr61
                                        ; implicit-def: $vgpr49
                                        ; implicit-def: $vgpr64
                                        ; implicit-def: $vgpr4
                                        ; implicit-def: $vgpr66
                                        ; implicit-def: $vgpr3
                                        ; implicit-def: $vgpr79
                                        ; implicit-def: $vgpr29
                                        ; implicit-def: $vgpr38
                                        ; implicit-def: $vgpr32
                                        ; implicit-def: $vgpr39
                                        ; implicit-def: $vgpr19
                                        ; implicit-def: $vgpr40
                                        ; implicit-def: $vgpr31
                                        ; implicit-def: $vgpr41
                                        ; implicit-def: $vgpr33
                                        ; implicit-def: $vgpr37
                                        ; implicit-def: $vgpr30
	s_xor_b32 exec_lo, exec_lo, s1
	s_cbranch_execz .LBB0_13
; %bb.12:
	s_add_u32 s6, s16, s6
	s_addc_u32 s7, s17, s7
	v_mul_u32_u24_e32 v3, 0x7d, v43
	s_load_dwordx2 s[6:7], s[6:7], 0x0
	v_sub_nc_u32_e32 v24, v0, v3
	v_lshlrev_b64 v[0:1], 2, v[1:2]
	v_mad_u64_u32 v[3:4], null, s20, v24, 0
	v_add_nc_u32_e32 v14, 0x271, v24
	v_add_nc_u32_e32 v17, 0x4e2, v24
	;; [unrolled: 1-line block ×5, first 2 shown]
	v_mad_u64_u32 v[5:6], null, s20, v14, 0
	v_mov_b32_e32 v2, v4
	v_mad_u64_u32 v[7:8], null, s20, v17, 0
	s_waitcnt lgkmcnt(0)
	v_mul_lo_u32 v4, s7, v22
	v_mul_lo_u32 v15, s6, v23
	v_mad_u64_u32 v[9:10], null, s6, v22, 0
	v_mad_u64_u32 v[11:12], null, s21, v24, v[2:3]
	v_mov_b32_e32 v2, v6
	v_mov_b32_e32 v6, v8
	v_mad_u64_u32 v[12:13], null, s20, v18, 0
	v_add3_u32 v10, v10, v15, v4
	v_mad_u64_u32 v[14:15], null, s21, v14, v[2:3]
	v_mov_b32_e32 v4, v11
	v_mad_u64_u32 v[15:16], null, s20, v19, 0
	v_lshlrev_b64 v[8:9], 2, v[9:10]
	v_mad_u64_u32 v[10:11], null, s21, v17, v[6:7]
	v_lshlrev_b64 v[3:4], 2, v[3:4]
	v_mov_b32_e32 v6, v14
	v_mov_b32_e32 v2, v13
	v_add_co_u32 v11, s0, s8, v8
	v_add_co_ci_u32_e64 v9, s0, s9, v9, s0
	v_mov_b32_e32 v8, v10
	v_add_co_u32 v50, s0, v11, v0
	v_add_co_ci_u32_e64 v51, s0, v9, v1, s0
	v_lshlrev_b64 v[0:1], 2, v[5:6]
	v_add_co_u32 v3, s0, v50, v3
	v_add_co_ci_u32_e64 v4, s0, v51, v4, s0
	v_add_nc_u32_e32 v48, 0xbb8, v24
	v_mad_u64_u32 v[5:6], null, s21, v18, v[2:3]
	v_lshlrev_b64 v[6:7], 2, v[7:8]
	v_add_co_u32 v0, s0, v50, v0
	v_add_co_ci_u32_e64 v1, s0, v51, v1, s0
	v_mov_b32_e32 v2, v16
	v_mov_b32_e32 v13, v5
	v_mad_u64_u32 v[8:9], null, s20, v25, 0
	v_add_co_u32 v5, s0, v50, v6
	v_add_co_ci_u32_e64 v6, s0, v51, v7, s0
	v_add_nc_u32_e32 v7, 0x2ee, v24
	v_mad_u64_u32 v[10:11], null, s21, v19, v[2:3]
	v_lshlrev_b64 v[11:12], 2, v[12:13]
	v_add_nc_u32_e32 v19, 0x55f, v24
	v_mad_u64_u32 v[13:14], null, s20, v7, 0
	v_mov_b32_e32 v2, v9
	v_mad_u64_u32 v[17:18], null, s20, v19, 0
	v_mov_b32_e32 v16, v10
	;; [unrolled: 2-line block ×3, first 2 shown]
	v_add_co_u32 v10, s0, v50, v11
	v_lshlrev_b64 v[15:16], 2, v[15:16]
	v_add_co_ci_u32_e64 v11, s0, v51, v12, s0
	v_mad_u64_u32 v[26:27], null, s21, v7, v[2:3]
	v_mov_b32_e32 v2, v18
	v_lshlrev_b64 v[7:8], 2, v[8:9]
	v_add_nc_u32_e32 v9, 0x7d0, v24
	v_add_co_u32 v15, s0, v50, v15
	v_mad_u64_u32 v[18:19], null, s21, v19, v[2:3]
	v_mad_u64_u32 v[27:28], null, s20, v9, 0
	v_add_nc_u32_e32 v19, 0xa41, v24
	v_mov_b32_e32 v14, v26
	v_add_co_ci_u32_e64 v16, s0, v51, v16, s0
	v_add_co_u32 v7, s0, v50, v7
	v_mad_u64_u32 v[34:35], null, s20, v19, 0
	v_lshlrev_b64 v[12:13], 2, v[13:14]
	v_mov_b32_e32 v2, v28
	v_lshlrev_b64 v[17:18], 2, v[17:18]
	v_add_co_ci_u32_e64 v8, s0, v51, v8, s0
	v_add_nc_u32_e32 v26, 0xfa, v24
	v_mad_u64_u32 v[28:29], null, s21, v9, v[2:3]
	v_add_co_u32 v12, s0, v50, v12
	v_mov_b32_e32 v2, v35
	v_add_co_ci_u32_e64 v13, s0, v51, v13, s0
	v_add_co_u32 v17, s0, v50, v17
	v_add_co_ci_u32_e64 v18, s0, v51, v18, s0
	v_mad_u64_u32 v[35:36], null, s21, v19, v[2:3]
	s_clause 0x7
	global_load_dword v30, v[3:4], off
	global_load_dword v33, v[0:1], off
	;; [unrolled: 1-line block ×8, first 2 shown]
	v_mad_u64_u32 v[36:37], null, s20, v26, 0
	v_add_nc_u32_e32 v12, 0x36b, v24
	v_add_nc_u32_e32 v16, 0x5dc, v24
	v_lshlrev_b64 v[0:1], 2, v[27:28]
	v_add_nc_u32_e32 v18, 0xabe, v24
	v_add_nc_u32_e32 v27, 0x177, v24
	v_mad_u64_u32 v[5:6], null, s20, v12, 0
	v_mov_b32_e32 v2, v37
	v_mad_u64_u32 v[10:11], null, s20, v16, 0
	v_add_co_u32 v0, s0, v50, v0
	v_add_co_ci_u32_e64 v1, s0, v51, v1, s0
	v_add_nc_u32_e32 v28, 0x1f4, v24
	s_waitcnt vmcnt(2)
	v_lshrrev_b32_e32 v79, 16, v29
	s_waitcnt vmcnt(1)
	v_mad_u64_u32 v[7:8], null, s21, v26, v[2:3]
	v_lshlrev_b64 v[8:9], 2, v[34:35]
	v_mov_b32_e32 v2, v6
	v_lshrrev_b32_e32 v66, 16, v3
	s_waitcnt vmcnt(0)
	v_lshrrev_b32_e32 v64, 16, v4
	v_mov_b32_e32 v37, v7
	v_mad_u64_u32 v[6:7], null, s21, v12, v[2:3]
	v_add_co_u32 v7, s0, v50, v8
	v_add_co_ci_u32_e64 v8, s0, v51, v9, s0
	v_add_nc_u32_e32 v9, 0x84d, v24
	v_mov_b32_e32 v2, v11
	v_lshlrev_b64 v[12:13], 2, v[36:37]
	v_lshlrev_b64 v[5:6], 2, v[5:6]
	v_mad_u64_u32 v[14:15], null, s20, v9, 0
	v_mad_u64_u32 v[16:17], null, s21, v16, v[2:3]
	v_add_co_u32 v12, s0, v50, v12
	v_add_co_ci_u32_e64 v13, s0, v51, v13, s0
	v_mov_b32_e32 v2, v15
	v_add_co_u32 v5, s0, v50, v5
	v_mov_b32_e32 v11, v16
	v_mad_u64_u32 v[16:17], null, s20, v18, 0
	v_mad_u64_u32 v[34:35], null, s21, v9, v[2:3]
	;; [unrolled: 1-line block ×3, first 2 shown]
	v_lshlrev_b64 v[9:10], 2, v[10:11]
	v_add_nc_u32_e32 v11, 0x3e8, v24
	v_mov_b32_e32 v2, v17
	v_add_co_ci_u32_e64 v6, s0, v51, v6, s0
	v_mov_b32_e32 v15, v34
	v_add_co_u32 v9, s0, v50, v9
	v_mad_u64_u32 v[17:18], null, s21, v18, v[2:3]
	v_mov_b32_e32 v2, v36
	v_add_nc_u32_e32 v18, 0x659, v24
	v_lshlrev_b64 v[14:15], 2, v[14:15]
	v_add_co_ci_u32_e64 v10, s0, v51, v10, s0
	v_mad_u64_u32 v[36:37], null, s21, v27, v[2:3]
	v_mad_u64_u32 v[37:38], null, s20, v11, 0
	;; [unrolled: 1-line block ×3, first 2 shown]
	v_lshlrev_b64 v[16:17], 2, v[16:17]
	v_add_co_u32 v14, s0, v50, v14
	v_lshlrev_b64 v[34:35], 2, v[35:36]
	v_mov_b32_e32 v2, v38
	v_add_co_ci_u32_e64 v15, s0, v51, v15, s0
	v_add_co_u32 v16, s0, v50, v16
	v_mad_u64_u32 v[41:42], null, s21, v11, v[2:3]
	v_mov_b32_e32 v2, v40
	v_add_nc_u32_e32 v11, 0x8ca, v24
	v_add_co_ci_u32_e64 v17, s0, v51, v17, s0
	v_add_co_u32 v43, s0, v50, v34
	v_mov_b32_e32 v38, v41
	v_mad_u64_u32 v[40:41], null, s21, v18, v[2:3]
	v_mad_u64_u32 v[45:46], null, s20, v11, 0
	v_add_nc_u32_e32 v18, 0xb3b, v24
	v_add_co_ci_u32_e64 v44, s0, v51, v35, s0
	s_clause 0x7
	global_load_dword v49, v[0:1], off
	global_load_dword v42, v[7:8], off
	;; [unrolled: 1-line block ×8, first 2 shown]
	v_lshlrev_b64 v[0:1], 2, v[37:38]
	v_mad_u64_u32 v[5:6], null, s20, v18, 0
	v_mov_b32_e32 v2, v46
	v_add_nc_u32_e32 v43, 0x6d6, v24
	v_add_co_u32 v0, s0, v50, v0
	v_mad_u64_u32 v[11:12], null, s21, v11, v[2:3]
	v_mov_b32_e32 v2, v6
	v_lshlrev_b64 v[12:13], 2, v[39:40]
	v_add_nc_u32_e32 v39, 0x465, v24
	v_add_co_ci_u32_e64 v1, s0, v51, v1, s0
	v_mad_u64_u32 v[14:15], null, s21, v18, v[2:3]
	v_mad_u64_u32 v[15:16], null, s20, v28, 0
	v_mov_b32_e32 v46, v11
	v_add_co_u32 v11, s0, v50, v12
	v_add_co_ci_u32_e64 v12, s0, v51, v13, s0
	v_mov_b32_e32 v6, v14
	v_mov_b32_e32 v2, v16
	v_mad_u64_u32 v[13:14], null, s20, v39, 0
	v_lshlrev_b64 v[17:18], 2, v[45:46]
	v_lshlrev_b64 v[5:6], 2, v[5:6]
	v_mad_u64_u32 v[36:37], null, s21, v28, v[2:3]
	v_mad_u64_u32 v[37:38], null, s20, v43, 0
	v_mov_b32_e32 v2, v14
	v_add_co_u32 v17, s0, v50, v17
	v_add_co_ci_u32_e64 v18, s0, v51, v18, s0
	v_mov_b32_e32 v16, v36
	v_add_nc_u32_e32 v36, 0x947, v24
	v_mad_u64_u32 v[39:40], null, s21, v39, v[2:3]
	v_mov_b32_e32 v2, v38
	v_lshlrev_b64 v[15:16], 2, v[15:16]
	v_mad_u64_u32 v[40:41], null, s20, v36, 0
	v_add_co_u32 v5, s0, v50, v5
	v_mad_u64_u32 v[43:44], null, s21, v43, v[2:3]
	v_mad_u64_u32 v[44:45], null, s20, v48, 0
	v_mov_b32_e32 v2, v41
	v_mov_b32_e32 v14, v39
	v_add_co_ci_u32_e64 v6, s0, v51, v6, s0
	v_mov_b32_e32 v38, v43
	v_mad_u64_u32 v[46:47], null, s21, v36, v[2:3]
	v_mov_b32_e32 v2, v45
	v_lshlrev_b64 v[13:14], 2, v[13:14]
	v_add_co_u32 v15, s0, v50, v15
	v_lshlrev_b64 v[36:37], 2, v[37:38]
	v_mad_u64_u32 v[47:48], null, s21, v48, v[2:3]
	v_mov_b32_e32 v41, v46
	v_add_co_ci_u32_e64 v16, s0, v51, v16, s0
	v_add_co_u32 v13, s0, v50, v13
	v_add_co_ci_u32_e64 v14, s0, v51, v14, s0
	v_mov_b32_e32 v45, v47
	v_lshlrev_b64 v[38:39], 2, v[40:41]
	v_add_co_u32 v40, s0, v50, v36
	v_add_co_ci_u32_e64 v41, s0, v51, v37, s0
	v_lshlrev_b64 v[36:37], 2, v[44:45]
	v_add_co_u32 v38, s0, v50, v38
	v_add_co_ci_u32_e64 v39, s0, v51, v39, s0
	v_add_co_u32 v47, s0, v50, v36
	v_add_co_ci_u32_e64 v48, s0, v51, v37, s0
	s_clause 0x8
	global_load_dword v71, v[0:1], off
	global_load_dword v46, v[11:12], off
	;; [unrolled: 1-line block ×9, first 2 shown]
	v_lshrrev_b32_e32 v37, 16, v30
	v_lshrrev_b32_e32 v41, 16, v33
	;; [unrolled: 1-line block ×5, first 2 shown]
	s_waitcnt vmcnt(16)
	v_lshrrev_b32_e32 v61, 16, v49
	s_waitcnt vmcnt(15)
	v_lshrrev_b32_e32 v50, 16, v42
	;; [unrolled: 2-line block ×17, first 2 shown]
.LBB0_13:
	s_or_b32 exec_lo, exec_lo, s1
	v_add_f16_e32 v0, v19, v31
	v_add_f16_e32 v1, v32, v33
	v_sub_f16_e32 v2, v33, v31
	v_sub_f16_e32 v43, v32, v19
	v_add_f16_e32 v45, v33, v30
	v_fma_f16 v47, -0.5, v0, v30
	v_fmac_f16_e32 v30, -0.5, v1
	v_sub_f16_e32 v48, v40, v39
	v_add_f16_e32 v2, v43, v2
	v_sub_f16_e32 v43, v41, v38
	v_sub_f16_e32 v0, v31, v33
	v_add_f16_e32 v45, v31, v45
	v_fmamk_f16 v1, v48, 0x3b9c, v30
	v_fmac_f16_e32 v30, 0xbb9c, v48
	v_sub_f16_e32 v51, v19, v32
	v_fmamk_f16 v52, v43, 0xbb9c, v47
	v_add_f16_e32 v45, v19, v45
	v_fmac_f16_e32 v1, 0xb8b4, v43
	v_fmac_f16_e32 v30, 0x38b4, v43
	v_add_f16_e32 v0, v51, v0
	v_fmac_f16_e32 v52, 0xb8b4, v48
	v_mad_u32_u24 v80, v24, 10, 0
	v_sub_f16_e32 v51, v3, v4
	v_pack_b32_f16 v1, v1, v30
	v_add_f16_e32 v30, v32, v45
	v_mul_f16_e32 v0, 0x34f2, v0
	v_fmac_f16_e32 v52, 0x34f2, v2
	v_add_f16_e32 v45, v42, v3
	v_sub_f16_e32 v54, v49, v42
	v_fmac_f16_e32 v47, 0x3b9c, v43
	v_pk_add_f16 v1, v0, v1 op_sel_hi:[0,1]
	v_pack_b32_f16 v0, v30, v52
	v_add_f16_e32 v30, v49, v4
	v_sub_f16_e32 v52, v42, v49
	v_fmac_f16_e32 v47, 0x38b4, v48
	v_add_f16_e32 v43, v7, v8
	ds_write_b64 v80, v[0:1]
	v_fma_f16 v53, -0.5, v30, v29
	v_add_f16_e32 v30, v3, v29
	v_fmac_f16_e32 v29, -0.5, v45
	v_sub_f16_e32 v45, v64, v61
	v_add_f16_e32 v51, v52, v51
	v_sub_f16_e32 v52, v66, v50
	v_add_f16_e32 v30, v4, v30
	v_sub_f16_e32 v1, v4, v3
	v_fmamk_f16 v0, v45, 0x3b9c, v29
	v_fmac_f16_e32 v29, 0xbb9c, v45
	v_fmamk_f16 v55, v52, 0xbb9c, v53
	v_add_f16_e32 v30, v49, v30
	v_add_f16_e32 v1, v54, v1
	v_fmac_f16_e32 v0, 0xb8b4, v52
	v_fmac_f16_e32 v29, 0x38b4, v52
	;; [unrolled: 1-line block ×4, first 2 shown]
	v_mul_f16_e32 v1, 0x34f2, v1
	v_sub_f16_e32 v54, v78, v75
	v_pack_b32_f16 v0, v0, v29
	v_add_f16_e32 v29, v42, v30
	v_add_f16_e32 v30, v9, v10
	v_fmac_f16_e32 v55, 0x34f2, v51
	ds_write_b16 v80, v47 offset:8
	v_pk_add_f16 v1, v1, v0 op_sel_hi:[0,1]
	v_sub_f16_e32 v47, v8, v10
	v_fma_f16 v2, -0.5, v30, v35
	v_add_f16_e32 v30, v8, v35
	v_fmac_f16_e32 v35, -0.5, v43
	v_sub_f16_e32 v43, v77, v76
	v_pack_b32_f16 v0, v29, v55
	v_sub_f16_e32 v55, v7, v9
	v_sub_f16_e32 v56, v10, v8
	;; [unrolled: 1-line block ×3, first 2 shown]
	v_fmamk_f16 v48, v43, 0x3b9c, v35
	v_fmac_f16_e32 v35, 0xbb9c, v43
	v_add_f16_e32 v47, v55, v47
	v_mad_i32_i24 v29, v25, 10, 0
	v_add_f16_e32 v55, v57, v56
	v_fmac_f16_e32 v48, 0xb8b4, v54
	v_fmac_f16_e32 v35, 0x38b4, v54
	;; [unrolled: 1-line block ×3, first 2 shown]
	v_add_f16_e32 v30, v10, v30
	v_fmamk_f16 v58, v54, 0xbb9c, v2
	ds_write_b64 v29, v[0:1]
	v_pack_b32_f16 v35, v48, v35
	v_mul_f16_e32 v48, 0x34f2, v55
	v_fmac_f16_e32 v53, 0x38b4, v45
	v_add_f16_e32 v45, v69, v71
	v_add_f16_e32 v30, v9, v30
	v_fmac_f16_e32 v58, 0xb8b4, v43
	v_pk_add_f16 v1, v48, v35 op_sel_hi:[0,1]
	v_add_f16_e32 v35, v44, v46
	v_fmac_f16_e32 v53, 0x34f2, v51
	v_add_f16_e32 v30, v7, v30
	v_fmac_f16_e32 v58, 0x34f2, v47
	v_sub_f16_e32 v52, v73, v68
	v_fma_f16 v48, -0.5, v35, v34
	v_add_f16_e32 v35, v71, v34
	v_fmac_f16_e32 v34, -0.5, v45
	v_sub_f16_e32 v45, v72, v70
	v_pack_b32_f16 v0, v30, v58
	v_mad_i32_i24 v30, v26, 10, 0
	ds_write_b16 v29, v53 offset:8
	ds_write_b64 v30, v[0:1]
	v_fmamk_f16 v51, v45, 0x3b9c, v34
	v_fmac_f16_e32 v34, 0xbb9c, v45
	v_sub_f16_e32 v0, v71, v46
	v_sub_f16_e32 v1, v69, v44
	v_add_f16_e32 v35, v46, v35
	v_fmac_f16_e32 v51, 0xb8b4, v52
	v_fmac_f16_e32 v34, 0x38b4, v52
	v_sub_f16_e32 v53, v46, v71
	v_sub_f16_e32 v55, v44, v69
	v_add_f16_e32 v57, v1, v0
	v_add_f16_e32 v0, v44, v35
	v_pack_b32_f16 v34, v51, v34
	v_add_f16_e32 v35, v11, v12
	v_add_f16_e32 v51, v13, v14
	v_add_f16_e32 v1, v55, v53
	v_sub_f16_e32 v53, v14, v12
	v_sub_f16_e32 v55, v13, v11
	v_fma_f16 v58, -0.5, v35, v36
	v_add_f16_e32 v35, v14, v36
	v_fmac_f16_e32 v36, -0.5, v51
	v_sub_f16_e32 v51, v17, v16
	v_add_f16_e32 v53, v55, v53
	v_sub_f16_e32 v55, v12, v14
	v_sub_f16_e32 v59, v18, v15
	v_add_f16_e32 v35, v12, v35
	v_fmamk_f16 v60, v51, 0x3b9c, v36
	v_fmac_f16_e32 v36, 0xbb9c, v51
	v_sub_f16_e32 v62, v11, v13
	v_fmamk_f16 v56, v52, 0xbb9c, v48
	v_add_f16_e32 v35, v11, v35
	v_fmac_f16_e32 v60, 0xb8b4, v59
	v_fmac_f16_e32 v36, 0x38b4, v59
	v_add_f16_e32 v55, v62, v55
	v_fmac_f16_e32 v56, 0xb8b4, v45
	v_sub_f16_e32 v81, v33, v32
	v_fmac_f16_e32 v2, 0x3b9c, v54
	v_pack_b32_f16 v36, v60, v36
	v_add_f16_e32 v60, v13, v35
	v_mul_f16_e32 v35, 0x34f2, v55
	v_add_f16_e32 v55, v41, v37
	v_add_f16_e32 v0, v69, v0
	v_fmac_f16_e32 v56, 0x34f2, v57
	v_sub_f16_e32 v19, v31, v19
	v_pk_add_f16 v35, v35, v36 op_sel_hi:[0,1]
	v_add_f16_e32 v32, v40, v55
	v_add_f16_e32 v36, v39, v40
	;; [unrolled: 1-line block ×3, first 2 shown]
	v_fmac_f16_e32 v2, 0x38b4, v43
	v_fmamk_f16 v63, v59, 0xbb9c, v58
	v_add_f16_e32 v32, v39, v32
	v_fma_f16 v82, -0.5, v36, v37
	v_fmac_f16_e32 v37, -0.5, v55
	v_pack_b32_f16 v0, v0, v56
	v_sub_f16_e32 v56, v38, v39
	v_add_f16_e32 v55, v38, v32
	v_sub_f16_e32 v31, v40, v41
	v_sub_f16_e32 v32, v39, v38
	v_fmamk_f16 v38, v19, 0xbb9c, v37
	v_fmac_f16_e32 v37, 0x3b9c, v19
	v_fmac_f16_e32 v2, 0x34f2, v47
	v_add_f16_e32 v67, v61, v64
	v_fmac_f16_e32 v48, 0x3b9c, v52
	v_fmac_f16_e32 v63, 0xb8b4, v51
	;; [unrolled: 1-line block ×3, first 2 shown]
	v_mul_f16_e32 v1, 0x34f2, v1
	v_sub_f16_e32 v33, v41, v40
	v_add_f16_e32 v31, v32, v31
	v_fmac_f16_e32 v38, 0x38b4, v81
	v_fmac_f16_e32 v37, 0xb8b4, v81
	v_fmamk_f16 v41, v81, 0x3b9c, v82
	ds_write_b16 v30, v2 offset:8
	v_add_f16_e32 v2, v66, v79
	v_add_f16_e32 v85, v50, v66
	v_fma_f16 v87, -0.5, v67, v79
	v_sub_f16_e32 v3, v3, v42
	v_fmac_f16_e32 v48, 0x38b4, v45
	v_fmac_f16_e32 v63, 0x34f2, v53
	;; [unrolled: 1-line block ×3, first 2 shown]
	v_pk_add_f16 v1, v1, v34 op_sel_hi:[0,1]
	v_add_f16_e32 v83, v56, v33
	v_fmac_f16_e32 v38, 0x34f2, v31
	v_fmac_f16_e32 v37, 0x34f2, v31
	;; [unrolled: 1-line block ×3, first 2 shown]
	v_mad_i32_i24 v31, v27, 10, 0
	v_add_f16_e32 v2, v64, v2
	v_sub_f16_e32 v4, v4, v49
	v_fmac_f16_e32 v79, -0.5, v85
	v_sub_f16_e32 v49, v66, v64
	v_sub_f16_e32 v85, v50, v61
	v_fmamk_f16 v89, v3, 0x3b9c, v87
	v_fmac_f16_e32 v48, 0x34f2, v57
	v_pack_b32_f16 v34, v60, v63
	v_mad_i32_i24 v32, v28, 10, 0
	v_fmac_f16_e32 v58, 0x34f2, v53
	s_load_dwordx2 s[4:5], s[4:5], 0x0
	v_fmac_f16_e32 v41, 0x34f2, v83
	ds_write_b64 v31, v[0:1]
	ds_write_b16 v31, v48 offset:8
	ds_write_b64 v32, v[34:35]
	ds_write_b16 v32, v58 offset:8
	v_lshlrev_b32_e32 v0, 3, v24
	v_lshlrev_b32_e32 v34, 3, v27
	;; [unrolled: 1-line block ×3, first 2 shown]
	v_add_f16_e32 v2, v61, v2
	v_add_f16_e32 v42, v85, v49
	v_fmac_f16_e32 v89, 0x38b4, v4
	v_lshlrev_b32_e32 v36, 3, v25
	v_pack_b32_f16 v1, v38, v37
	v_lshlrev_b32_e32 v37, 3, v28
	v_sub_nc_u32_e32 v33, v80, v0
	v_sub_nc_u32_e32 v39, v31, v34
	;; [unrolled: 1-line block ×3, first 2 shown]
	v_pack_b32_f16 v0, v55, v41
	v_sub_f16_e32 v64, v64, v66
	v_sub_f16_e32 v88, v61, v50
	v_add_f16_e32 v2, v50, v2
	v_fmac_f16_e32 v89, 0x34f2, v42
	v_sub_nc_u32_e32 v38, v29, v36
	v_sub_nc_u32_e32 v41, v32, v37
	s_waitcnt lgkmcnt(0)
	s_barrier
	buffer_gl0_inv
	ds_read_u16 v45, v39
	ds_read_u16 v48, v33
	ds_read_u16 v84, v33 offset:1250
	ds_read_u16 v59, v33 offset:1500
	ds_read_u16 v55, v33 offset:1750
	ds_read_u16 v52, v33 offset:2000
	ds_read_u16 v54, v33 offset:3000
	ds_read_u16 v43, v33 offset:3250
	ds_read_u16 v62, v33 offset:5000
	ds_read_u16 v58, v33 offset:5250
	ds_read_u16 v53, v33 offset:5500
	ds_read_u16 v51, v33 offset:5750
	ds_read_u16 v47, v41
	ds_read_u16 v65, v33 offset:2750
	ds_read_u16 v86, v33 offset:2500
	;; [unrolled: 1-line block ×9, first 2 shown]
	v_add_f16_e32 v85, v88, v64
	v_fmamk_f16 v88, v4, 0xbb9c, v79
	v_fmac_f16_e32 v79, 0x3b9c, v4
	v_fmac_f16_e32 v82, 0xbb9c, v81
	ds_read_u16 v49, v40
	ds_read_u16 v50, v38
	ds_read_u16 v64, v33 offset:6000
	s_waitcnt lgkmcnt(0)
	s_barrier
	buffer_gl0_inv
	ds_write_b64 v80, v[0:1]
	v_pack_b32_f16 v0, v2, v89
	v_add_f16_e32 v2, v78, v74
	v_fmac_f16_e32 v88, 0x38b4, v3
	v_fmac_f16_e32 v79, 0xb8b4, v3
	;; [unrolled: 1-line block ×3, first 2 shown]
	v_add_f16_e32 v19, v76, v77
	v_add_f16_e32 v2, v77, v2
	v_fmac_f16_e32 v88, 0x34f2, v85
	v_fmac_f16_e32 v79, 0x34f2, v85
	v_sub_f16_e32 v9, v10, v9
	v_fma_f16 v10, -0.5, v19, v74
	v_add_f16_e32 v2, v76, v2
	v_sub_f16_e32 v7, v8, v7
	v_pack_b32_f16 v1, v88, v79
	v_add_f16_e32 v79, v75, v78
	v_sub_f16_e32 v19, v78, v77
	v_sub_f16_e32 v77, v77, v78
	;; [unrolled: 1-line block ×4, first 2 shown]
	v_add_f16_e32 v2, v75, v2
	v_fmamk_f16 v75, v7, 0x3b9c, v10
	v_fmac_f16_e32 v74, -0.5, v79
	v_add_f16_e32 v19, v78, v19
	v_fmac_f16_e32 v82, 0x34f2, v83
	v_add_f16_e32 v8, v8, v77
	v_fmac_f16_e32 v75, 0x38b4, v9
	v_fmamk_f16 v76, v9, 0xbb9c, v74
	v_fmac_f16_e32 v74, 0x3b9c, v9
	ds_write_b16 v80, v82 offset:8
	v_fmac_f16_e32 v10, 0xbb9c, v7
	v_fmac_f16_e32 v75, 0x34f2, v19
	;; [unrolled: 1-line block ×4, first 2 shown]
	ds_write_b64 v29, v[0:1]
	v_fmac_f16_e32 v87, 0xbb9c, v3
	v_pack_b32_f16 v0, v2, v75
	v_add_f16_e32 v2, v70, v72
	v_fmac_f16_e32 v76, 0x34f2, v8
	v_fmac_f16_e32 v74, 0x34f2, v8
	;; [unrolled: 1-line block ×4, first 2 shown]
	v_fma_f16 v8, -0.5, v2, v6
	v_add_f16_e32 v2, v68, v73
	v_add_f16_e32 v9, v73, v6
	v_fmac_f16_e32 v10, 0x34f2, v19
	v_sub_f16_e32 v19, v46, v44
	v_fmac_f16_e32 v87, 0x34f2, v42
	v_fmac_f16_e32 v6, -0.5, v2
	v_sub_f16_e32 v3, v71, v69
	v_sub_f16_e32 v4, v73, v72
	;; [unrolled: 1-line block ×3, first 2 shown]
	v_add_f16_e32 v2, v72, v9
	v_sub_f16_e32 v9, v72, v73
	v_sub_f16_e32 v42, v70, v68
	v_fmamk_f16 v44, v19, 0xbb9c, v6
	v_fmac_f16_e32 v6, 0x3b9c, v19
	v_add_f16_e32 v4, v7, v4
	v_fmamk_f16 v7, v3, 0x3b9c, v8
	v_fmac_f16_e32 v8, 0xbb9c, v3
	v_add_f16_e32 v9, v42, v9
	v_fmac_f16_e32 v44, 0x38b4, v3
	v_fmac_f16_e32 v6, 0xb8b4, v3
	;; [unrolled: 1-line block ×4, first 2 shown]
	v_add_f16_e32 v3, v18, v5
	v_fmac_f16_e32 v44, 0x34f2, v9
	v_fmac_f16_e32 v6, 0x34f2, v9
	v_add_f16_e32 v9, v16, v17
	v_fmac_f16_e32 v7, 0x34f2, v4
	v_fmac_f16_e32 v8, 0x34f2, v4
	v_sub_f16_e32 v4, v14, v13
	v_sub_f16_e32 v13, v18, v17
	v_add_f16_e32 v3, v17, v3
	v_sub_f16_e32 v14, v15, v16
	v_add_f16_e32 v19, v15, v18
	v_fma_f16 v9, -0.5, v9, v5
	v_sub_f16_e32 v11, v12, v11
	v_add_f16_e32 v3, v16, v3
	v_add_f16_e32 v12, v14, v13
	v_fmac_f16_e32 v5, -0.5, v19
	v_fmamk_f16 v13, v4, 0x3b9c, v9
	v_fmac_f16_e32 v9, 0xbb9c, v4
	v_and_b32_e32 v46, 0xff, v24
	v_add_f16_e32 v2, v70, v2
	v_sub_f16_e32 v14, v17, v18
	v_add_f16_e32 v17, v15, v3
	v_sub_f16_e32 v3, v16, v15
	v_fmac_f16_e32 v13, 0x38b4, v11
	v_fmamk_f16 v15, v11, 0xbb9c, v5
	v_fmac_f16_e32 v5, 0x3b9c, v11
	v_fmac_f16_e32 v9, 0xb8b4, v11
	v_mul_lo_u16 v11, 0xcd, v46
	v_add_f16_e32 v2, v68, v2
	v_pack_b32_f16 v1, v76, v74
	v_fmac_f16_e32 v15, 0x38b4, v4
	v_fmac_f16_e32 v5, 0xb8b4, v4
	v_lshrrev_b16 v68, 10, v11
	ds_write_b16 v29, v87 offset:8
	ds_write_b64 v30, v[0:1]
	v_pack_b32_f16 v1, v44, v6
	v_and_b32_e32 v44, 0xff, v25
	v_add_f16_e32 v3, v3, v14
	v_mul_lo_u16 v4, v68, 5
	v_fmac_f16_e32 v13, 0x34f2, v12
	v_mov_b32_e32 v42, 4
	v_pack_b32_f16 v0, v2, v7
	v_fmac_f16_e32 v15, 0x34f2, v3
	v_sub_nc_u16 v69, v24, v4
	v_mul_lo_u16 v4, 0xcd, v44
	v_fmac_f16_e32 v5, 0x34f2, v3
	v_pack_b32_f16 v2, v17, v13
	v_fmac_f16_e32 v9, 0x34f2, v12
	v_mov_b32_e32 v12, 0xcccd
	v_lshrrev_b16 v70, 10, v4
	v_pack_b32_f16 v3, v15, v5
	ds_write_b16 v30, v10 offset:8
	ds_write_b64 v31, v[0:1]
	ds_write_b16 v31, v8 offset:8
	ds_write_b64 v32, v[2:3]
	v_lshlrev_b32_sdwa v0, v42, v69 dst_sel:DWORD dst_unused:UNUSED_PAD src0_sel:DWORD src1_sel:BYTE_0
	v_mul_lo_u16 v4, v70, 5
	ds_write_b16 v32, v9 offset:8
	s_waitcnt lgkmcnt(0)
	s_barrier
	buffer_gl0_inv
	global_load_dwordx4 v[0:3], v0, s[12:13]
	v_sub_nc_u16 v72, v25, v4
	v_mul_u32_u24_sdwa v4, v26, v12 dst_sel:DWORD dst_unused:UNUSED_PAD src0_sel:WORD_0 src1_sel:DWORD
	v_mul_u32_u24_sdwa v9, v27, v12 dst_sel:DWORD dst_unused:UNUSED_PAD src0_sel:WORD_0 src1_sel:DWORD
	;; [unrolled: 1-line block ×3, first 2 shown]
	v_lshlrev_b32_sdwa v5, v42, v72 dst_sel:DWORD dst_unused:UNUSED_PAD src0_sel:DWORD src1_sel:BYTE_0
	v_lshrrev_b32_e32 v71, 18, v4
	v_lshrrev_b32_e32 v73, 18, v9
	;; [unrolled: 1-line block ×3, first 2 shown]
	global_load_dwordx4 v[4:7], v5, s[12:13]
	v_mul_lo_u16 v8, v71, 5
	v_mul_lo_u16 v13, v73, 5
	;; [unrolled: 1-line block ×3, first 2 shown]
	v_sub_nc_u16 v75, v26, v8
	v_sub_nc_u16 v74, v27, v13
	;; [unrolled: 1-line block ×3, first 2 shown]
	v_lshlrev_b32_sdwa v8, v42, v75 dst_sel:DWORD dst_unused:UNUSED_PAD src0_sel:DWORD src1_sel:WORD_0
	v_lshlrev_b32_sdwa v13, v42, v74 dst_sel:DWORD dst_unused:UNUSED_PAD src0_sel:DWORD src1_sel:WORD_0
	v_lshlrev_b32_sdwa v12, v42, v77 dst_sel:DWORD dst_unused:UNUSED_PAD src0_sel:DWORD src1_sel:WORD_0
	s_clause 0x2
	global_load_dwordx4 v[8:11], v8, s[12:13]
	global_load_dwordx4 v[16:19], v13, s[12:13]
	;; [unrolled: 1-line block ×3, first 2 shown]
	ds_read_u16 v89, v33 offset:1250
	ds_read_u16 v94, v33 offset:2500
	;; [unrolled: 1-line block ×8, first 2 shown]
	ds_read_u16 v78, v33
	ds_read_u16 v98, v33 offset:5000
	s_waitcnt vmcnt(4) lgkmcnt(9)
	v_mul_f16_sdwa v88, v89, v0 dst_sel:DWORD dst_unused:UNUSED_PAD src0_sel:DWORD src1_sel:WORD_1
	v_mul_f16_sdwa v90, v84, v0 dst_sel:DWORD dst_unused:UNUSED_PAD src0_sel:DWORD src1_sel:WORD_1
	s_waitcnt lgkmcnt(8)
	v_mul_f16_sdwa v87, v94, v1 dst_sel:DWORD dst_unused:UNUSED_PAD src0_sel:DWORD src1_sel:WORD_1
	v_mul_f16_sdwa v97, v86, v1 dst_sel:DWORD dst_unused:UNUSED_PAD src0_sel:DWORD src1_sel:WORD_1
	;; [unrolled: 1-line block ×3, first 2 shown]
	v_fmac_f16_e32 v88, v84, v0
	v_fma_f16 v84, v89, v0, -v90
	ds_read_u16 v96, v33 offset:3000
	ds_read_u16 v92, v33 offset:3250
	;; [unrolled: 1-line block ×7, first 2 shown]
	s_waitcnt lgkmcnt(14)
	v_mul_f16_sdwa v89, v81, v2 dst_sel:DWORD dst_unused:UNUSED_PAD src0_sel:DWORD src1_sel:WORD_1
	s_waitcnt lgkmcnt(7)
	v_mul_f16_sdwa v104, v98, v3 dst_sel:DWORD dst_unused:UNUSED_PAD src0_sel:DWORD src1_sel:WORD_1
	v_fmac_f16_e32 v87, v86, v1
	v_fma_f16 v1, v94, v1, -v97
	ds_read_u16 v101, v33 offset:5250
	ds_read_u16 v97, v33 offset:5500
	;; [unrolled: 1-line block ×4, first 2 shown]
	ds_read_u16 v0, v39
	ds_read_u16 v102, v40
	;; [unrolled: 1-line block ×3, first 2 shown]
	v_mul_f16_sdwa v105, v62, v3 dst_sel:DWORD dst_unused:UNUSED_PAD src0_sel:DWORD src1_sel:WORD_1
	v_fmac_f16_e32 v89, v67, v2
	v_fma_f16 v2, v81, v2, -v100
	s_waitcnt vmcnt(3)
	v_mul_f16_sdwa v81, v82, v4 dst_sel:DWORD dst_unused:UNUSED_PAD src0_sel:DWORD src1_sel:WORD_1
	v_fmac_f16_e32 v104, v62, v3
	v_mul_f16_sdwa v62, v59, v4 dst_sel:DWORD dst_unused:UNUSED_PAD src0_sel:DWORD src1_sel:WORD_1
	v_fma_f16 v3, v98, v3, -v105
	v_mul_f16_sdwa v98, v79, v5 dst_sel:DWORD dst_unused:UNUSED_PAD src0_sel:DWORD src1_sel:WORD_1
	v_fmac_f16_e32 v81, v59, v4
	v_mul_f16_sdwa v59, v65, v5 dst_sel:DWORD dst_unused:UNUSED_PAD src0_sel:DWORD src1_sel:WORD_1
	s_waitcnt lgkmcnt(11)
	v_mul_f16_sdwa v100, v99, v6 dst_sel:DWORD dst_unused:UNUSED_PAD src0_sel:DWORD src1_sel:WORD_1
	v_fma_f16 v4, v82, v4, -v62
	v_mul_f16_sdwa v62, v66, v6 dst_sel:DWORD dst_unused:UNUSED_PAD src0_sel:DWORD src1_sel:WORD_1
	v_fmac_f16_e32 v98, v65, v5
	s_waitcnt lgkmcnt(6)
	v_mul_f16_sdwa v82, v101, v7 dst_sel:DWORD dst_unused:UNUSED_PAD src0_sel:DWORD src1_sel:WORD_1
	v_fma_f16 v5, v79, v5, -v59
	v_mul_f16_sdwa v59, v58, v7 dst_sel:DWORD dst_unused:UNUSED_PAD src0_sel:DWORD src1_sel:WORD_1
	v_fmac_f16_e32 v100, v66, v6
	v_fma_f16 v6, v99, v6, -v62
	s_waitcnt vmcnt(2)
	v_mul_f16_sdwa v99, v96, v9 dst_sel:DWORD dst_unused:UNUSED_PAD src0_sel:DWORD src1_sel:WORD_1
	v_fmac_f16_e32 v82, v58, v7
	v_mul_f16_sdwa v79, v80, v8 dst_sel:DWORD dst_unused:UNUSED_PAD src0_sel:DWORD src1_sel:WORD_1
	v_fma_f16 v7, v101, v7, -v59
	v_mul_f16_sdwa v58, v55, v8 dst_sel:DWORD dst_unused:UNUSED_PAD src0_sel:DWORD src1_sel:WORD_1
	v_mul_f16_sdwa v59, v54, v9 dst_sel:DWORD dst_unused:UNUSED_PAD src0_sel:DWORD src1_sel:WORD_1
	;; [unrolled: 1-line block ×3, first 2 shown]
	v_fmac_f16_e32 v99, v54, v9
	v_mul_f16_sdwa v54, v63, v10 dst_sel:DWORD dst_unused:UNUSED_PAD src0_sel:DWORD src1_sel:WORD_1
	v_fmac_f16_e32 v79, v55, v8
	v_fma_f16 v8, v80, v8, -v58
	v_fma_f16 v9, v96, v9, -v59
	v_fmac_f16_e32 v101, v63, v10
	s_waitcnt lgkmcnt(5)
	v_mul_f16_sdwa v80, v97, v11 dst_sel:DWORD dst_unused:UNUSED_PAD src0_sel:DWORD src1_sel:WORD_1
	v_mul_f16_sdwa v55, v53, v11 dst_sel:DWORD dst_unused:UNUSED_PAD src0_sel:DWORD src1_sel:WORD_1
	s_waitcnt vmcnt(1)
	v_mul_f16_sdwa v96, v83, v16 dst_sel:DWORD dst_unused:UNUSED_PAD src0_sel:DWORD src1_sel:WORD_1
	v_fma_f16 v10, v95, v10, -v54
	v_mul_f16_sdwa v54, v52, v16 dst_sel:DWORD dst_unused:UNUSED_PAD src0_sel:DWORD src1_sel:WORD_1
	v_fmac_f16_e32 v80, v53, v11
	v_fma_f16 v11, v97, v11, -v55
	v_fmac_f16_e32 v96, v52, v16
	v_mul_f16_sdwa v95, v92, v17 dst_sel:DWORD dst_unused:UNUSED_PAD src0_sel:DWORD src1_sel:WORD_1
	v_fma_f16 v16, v83, v16, -v54
	v_mul_f16_sdwa v52, v43, v17 dst_sel:DWORD dst_unused:UNUSED_PAD src0_sel:DWORD src1_sel:WORD_1
	v_mul_f16_sdwa v83, v93, v18 dst_sel:DWORD dst_unused:UNUSED_PAD src0_sel:DWORD src1_sel:WORD_1
	;; [unrolled: 1-line block ×3, first 2 shown]
	s_waitcnt lgkmcnt(4)
	v_mul_f16_sdwa v97, v94, v19 dst_sel:DWORD dst_unused:UNUSED_PAD src0_sel:DWORD src1_sel:WORD_1
	v_fmac_f16_e32 v95, v43, v17
	v_fma_f16 v17, v92, v17, -v52
	v_fmac_f16_e32 v83, v60, v18
	v_fma_f16 v18, v93, v18, -v53
	v_fmac_f16_e32 v97, v51, v19
	v_mul_f16_sdwa v43, v51, v19 dst_sel:DWORD dst_unused:UNUSED_PAD src0_sel:DWORD src1_sel:WORD_1
	s_waitcnt vmcnt(0)
	v_mul_f16_sdwa v92, v85, v12 dst_sel:DWORD dst_unused:UNUSED_PAD src0_sel:DWORD src1_sel:WORD_1
	v_mul_f16_sdwa v51, v56, v12 dst_sel:DWORD dst_unused:UNUSED_PAD src0_sel:DWORD src1_sel:WORD_1
	;; [unrolled: 1-line block ×4, first 2 shown]
	v_fma_f16 v19, v94, v19, -v43
	v_fmac_f16_e32 v92, v56, v12
	v_fma_f16 v12, v85, v12, -v51
	v_fmac_f16_e32 v93, v61, v13
	v_fma_f16 v13, v91, v13, -v52
	v_mul_f16_sdwa v91, v90, v14 dst_sel:DWORD dst_unused:UNUSED_PAD src0_sel:DWORD src1_sel:WORD_1
	v_mul_f16_sdwa v43, v57, v14 dst_sel:DWORD dst_unused:UNUSED_PAD src0_sel:DWORD src1_sel:WORD_1
	v_add_f16_e32 v51, v87, v89
	s_waitcnt lgkmcnt(3)
	v_mul_f16_sdwa v94, v86, v15 dst_sel:DWORD dst_unused:UNUSED_PAD src0_sel:DWORD src1_sel:WORD_1
	v_mul_f16_sdwa v52, v64, v15 dst_sel:DWORD dst_unused:UNUSED_PAD src0_sel:DWORD src1_sel:WORD_1
	v_fmac_f16_e32 v91, v57, v14
	v_fma_f16 v14, v90, v14, -v43
	v_fma_f16 v51, -0.5, v51, v48
	v_sub_f16_e32 v43, v84, v3
	v_fmac_f16_e32 v94, v64, v15
	v_fma_f16 v15, v86, v15, -v52
	v_sub_f16_e32 v52, v88, v87
	v_sub_f16_e32 v53, v104, v89
	v_add_f16_e32 v54, v88, v104
	v_fmamk_f16 v55, v43, 0xbb9c, v51
	v_sub_f16_e32 v56, v1, v2
	v_fmac_f16_e32 v51, 0x3b9c, v43
	v_add_f16_e32 v57, v48, v88
	v_fmac_f16_e32 v48, -0.5, v54
	v_add_f16_e32 v52, v52, v53
	v_fmac_f16_e32 v55, 0xb8b4, v56
	v_fmac_f16_e32 v51, 0x38b4, v56
	v_sub_f16_e32 v53, v87, v88
	v_sub_f16_e32 v54, v89, v104
	v_fmamk_f16 v58, v56, 0x3b9c, v48
	v_fmac_f16_e32 v48, 0xbb9c, v56
	v_add_f16_e32 v56, v57, v87
	v_fmac_f16_e32 v55, 0x34f2, v52
	v_fmac_f16_e32 v51, 0x34f2, v52
	v_add_f16_e32 v52, v1, v2
	v_add_f16_e32 v53, v53, v54
	v_fmac_f16_e32 v58, 0xb8b4, v43
	v_fmac_f16_e32 v48, 0x38b4, v43
	v_add_f16_e32 v43, v56, v89
	v_fma_f16 v86, -0.5, v52, v78
	v_add_f16_e32 v52, v84, v3
	v_add_f16_e32 v57, v78, v84
	v_fmac_f16_e32 v58, 0x34f2, v53
	v_fmac_f16_e32 v48, 0x34f2, v53
	v_add_f16_e32 v53, v43, v104
	v_sub_f16_e32 v43, v88, v104
	v_sub_f16_e32 v54, v84, v1
	;; [unrolled: 1-line block ×4, first 2 shown]
	v_fmac_f16_e32 v78, -0.5, v52
	v_add_f16_e32 v52, v57, v1
	v_fmamk_f16 v87, v43, 0x3b9c, v86
	v_add_f16_e32 v54, v54, v56
	v_fmac_f16_e32 v86, 0xbb9c, v43
	v_sub_f16_e32 v1, v1, v84
	v_sub_f16_e32 v56, v2, v3
	v_fmamk_f16 v88, v59, 0xbb9c, v78
	v_fmac_f16_e32 v78, 0x3b9c, v59
	v_add_f16_e32 v2, v52, v2
	v_add_f16_e32 v52, v98, v100
	v_fmac_f16_e32 v87, 0x38b4, v59
	v_fmac_f16_e32 v86, 0xb8b4, v59
	v_add_f16_e32 v1, v1, v56
	v_fmac_f16_e32 v88, 0x38b4, v43
	v_fmac_f16_e32 v78, 0xb8b4, v43
	v_add_f16_e32 v2, v2, v3
	v_fma_f16 v3, -0.5, v52, v50
	v_sub_f16_e32 v43, v4, v7
	v_fmac_f16_e32 v87, 0x34f2, v54
	v_fmac_f16_e32 v86, 0x34f2, v54
	;; [unrolled: 1-line block ×4, first 2 shown]
	v_sub_f16_e32 v1, v81, v98
	v_sub_f16_e32 v52, v82, v100
	v_fmamk_f16 v54, v43, 0xbb9c, v3
	v_sub_f16_e32 v56, v5, v6
	v_fmac_f16_e32 v3, 0x3b9c, v43
	v_add_f16_e32 v57, v81, v82
	v_add_f16_e32 v1, v1, v52
	;; [unrolled: 1-line block ×3, first 2 shown]
	v_fmac_f16_e32 v54, 0xb8b4, v56
	v_fmac_f16_e32 v3, 0x38b4, v56
	v_fmac_f16_e32 v50, -0.5, v57
	v_sub_f16_e32 v57, v98, v81
	v_sub_f16_e32 v59, v100, v82
	v_fmac_f16_e32 v54, 0x34f2, v1
	v_fmac_f16_e32 v3, 0x34f2, v1
	v_fmamk_f16 v1, v56, 0x3b9c, v50
	v_fmac_f16_e32 v50, 0xbb9c, v56
	v_add_f16_e32 v56, v57, v59
	v_sub_f16_e32 v57, v79, v99
	v_add_f16_e32 v59, v99, v101
	v_sub_f16_e32 v60, v80, v101
	v_fmac_f16_e32 v1, 0xb8b4, v43
	v_fmac_f16_e32 v50, 0x38b4, v43
	v_add_f16_e32 v43, v79, v80
	v_fma_f16 v59, -0.5, v59, v49
	v_sub_f16_e32 v61, v8, v11
	v_add_f16_e32 v57, v57, v60
	v_add_f16_e32 v60, v49, v79
	v_fmac_f16_e32 v49, -0.5, v43
	v_sub_f16_e32 v43, v9, v10
	v_fmamk_f16 v62, v61, 0xbb9c, v59
	v_fmac_f16_e32 v59, 0x3b9c, v61
	v_sub_f16_e32 v63, v99, v79
	v_sub_f16_e32 v64, v101, v80
	v_fmamk_f16 v65, v43, 0x3b9c, v49
	v_fmac_f16_e32 v49, 0xbb9c, v43
	v_fmac_f16_e32 v62, 0xb8b4, v43
	;; [unrolled: 1-line block ×3, first 2 shown]
	v_add_f16_e32 v43, v63, v64
	v_fmac_f16_e32 v65, 0xb8b4, v61
	v_fmac_f16_e32 v49, 0x38b4, v61
	v_add_f16_e32 v61, v95, v83
	v_fmac_f16_e32 v1, 0x34f2, v56
	v_fmac_f16_e32 v50, 0x34f2, v56
	;; [unrolled: 1-line block ×4, first 2 shown]
	v_fma_f16 v56, -0.5, v61, v45
	v_sub_f16_e32 v57, v16, v19
	v_fmac_f16_e32 v65, 0x34f2, v43
	v_fmac_f16_e32 v49, 0x34f2, v43
	v_sub_f16_e32 v43, v96, v95
	v_sub_f16_e32 v61, v97, v83
	v_add_f16_e32 v63, v96, v97
	v_fmamk_f16 v64, v57, 0xbb9c, v56
	v_sub_f16_e32 v66, v17, v18
	v_fmac_f16_e32 v56, 0x3b9c, v57
	v_add_f16_e32 v43, v43, v61
	v_add_f16_e32 v61, v45, v96
	v_fmac_f16_e32 v45, -0.5, v63
	v_fmac_f16_e32 v64, 0xb8b4, v66
	v_fmac_f16_e32 v56, 0x38b4, v66
	v_sub_f16_e32 v63, v95, v96
	v_sub_f16_e32 v67, v83, v97
	v_fmamk_f16 v84, v66, 0x3b9c, v45
	v_fmac_f16_e32 v64, 0x34f2, v43
	v_fmac_f16_e32 v56, 0x34f2, v43
	;; [unrolled: 1-line block ×3, first 2 shown]
	v_add_f16_e32 v43, v93, v91
	v_add_f16_e32 v63, v63, v67
	v_fmac_f16_e32 v84, 0xb8b4, v57
	v_sub_f16_e32 v66, v92, v93
	v_sub_f16_e32 v67, v94, v91
	v_fmac_f16_e32 v45, 0x38b4, v57
	v_add_f16_e32 v57, v92, v94
	v_fma_f16 v85, -0.5, v43, v47
	v_sub_f16_e32 v89, v12, v15
	v_add_f16_e32 v66, v66, v67
	v_add_f16_e32 v67, v47, v92
	v_fmac_f16_e32 v47, -0.5, v57
	v_sub_f16_e32 v43, v13, v14
	v_fmamk_f16 v57, v89, 0xbb9c, v85
	v_fmac_f16_e32 v85, 0x3b9c, v89
	v_sub_f16_e32 v90, v93, v92
	v_sub_f16_e32 v104, v91, v94
	v_fmamk_f16 v105, v43, 0x3b9c, v47
	v_fmac_f16_e32 v57, 0xb8b4, v43
	v_fmac_f16_e32 v85, 0x38b4, v43
	;; [unrolled: 1-line block ×3, first 2 shown]
	v_add_f16_e32 v90, v90, v104
	v_mov_b32_e32 v104, 50
	v_mov_b32_e32 v43, 1
	v_fmac_f16_e32 v84, 0x34f2, v63
	v_fmac_f16_e32 v45, 0x34f2, v63
	v_add_f16_e32 v52, v52, v98
	v_mul_u32_u24_sdwa v63, v68, v104 dst_sel:DWORD dst_unused:UNUSED_PAD src0_sel:WORD_0 src1_sel:DWORD
	v_lshlrev_b32_sdwa v68, v43, v69 dst_sel:DWORD dst_unused:UNUSED_PAD src0_sel:DWORD src1_sel:BYTE_0
	v_fmac_f16_e32 v105, 0xb8b4, v89
	v_fmac_f16_e32 v47, 0x38b4, v89
	ds_read_u16 v89, v41
	s_waitcnt lgkmcnt(0)
	v_add3_u32 v69, 0, v63, v68
	s_barrier
	buffer_gl0_inv
	ds_write_b16 v69, v53
	ds_write_b16 v69, v55 offset:10
	v_mul_u32_u24_sdwa v53, v70, v104 dst_sel:DWORD dst_unused:UNUSED_PAD src0_sel:WORD_0 src1_sel:DWORD
	v_lshlrev_b32_sdwa v55, v43, v72 dst_sel:DWORD dst_unused:UNUSED_PAD src0_sel:DWORD src1_sel:BYTE_0
	ds_write_b16 v69, v58 offset:20
	ds_write_b16 v69, v48 offset:30
	v_add_f16_e32 v48, v60, v99
	v_add_f16_e32 v52, v52, v100
	v_fmac_f16_e32 v57, 0x34f2, v66
	v_add3_u32 v70, 0, v53, v55
	v_mul_u32_u24_e32 v53, 50, v71
	v_lshlrev_b32_sdwa v55, v43, v75 dst_sel:DWORD dst_unused:UNUSED_PAD src0_sel:DWORD src1_sel:WORD_0
	v_add_f16_e32 v48, v48, v101
	v_add_f16_e32 v52, v52, v82
	ds_write_b16 v69, v51 offset:40
	ds_write_b16 v70, v52
	ds_write_b16 v70, v54 offset:10
	v_add3_u32 v71, 0, v53, v55
	v_add_f16_e32 v48, v48, v80
	ds_write_b16 v70, v1 offset:20
	ds_write_b16 v70, v50 offset:30
	v_add_f16_e32 v1, v61, v95
	ds_write_b16 v70, v3 offset:40
	ds_write_b16 v71, v48
	v_mul_u32_u24_e32 v3, 50, v73
	v_lshlrev_b32_sdwa v48, v43, v74 dst_sel:DWORD dst_unused:UNUSED_PAD src0_sel:DWORD src1_sel:WORD_0
	v_add_f16_e32 v50, v67, v93
	v_add_f16_e32 v1, v1, v83
	v_lshlrev_b32_sdwa v51, v43, v77 dst_sel:DWORD dst_unused:UNUSED_PAD src0_sel:DWORD src1_sel:WORD_0
	v_fmac_f16_e32 v85, 0x34f2, v66
	v_add3_u32 v3, 0, v3, v48
	v_mul_u32_u24_e32 v48, 50, v76
	v_add_f16_e32 v50, v50, v91
	v_add_f16_e32 v1, v1, v97
	v_fmac_f16_e32 v47, 0x34f2, v90
	ds_write_b16 v71, v62 offset:10
	ds_write_b16 v71, v65 offset:20
	;; [unrolled: 1-line block ×4, first 2 shown]
	ds_write_b16 v3, v1
	v_add3_u32 v1, 0, v48, v51
	v_add_f16_e32 v48, v50, v94
	v_fmac_f16_e32 v105, 0x34f2, v90
	ds_write_b16 v3, v64 offset:10
	ds_write_b16 v3, v84 offset:20
	;; [unrolled: 1-line block ×4, first 2 shown]
	ds_write_b16 v1, v48
	ds_write_b16 v1, v57 offset:10
	ds_write_b16 v1, v105 offset:20
	;; [unrolled: 1-line block ×4, first 2 shown]
	s_waitcnt lgkmcnt(0)
	s_barrier
	buffer_gl0_inv
	ds_read_u16 v45, v39
	ds_read_u16 v49, v33
	ds_read_u16 v84, v33 offset:1250
	ds_read_u16 v64, v33 offset:1500
	;; [unrolled: 1-line block ×10, first 2 shown]
	ds_read_u16 v47, v41
	ds_read_u16 v65, v33 offset:2750
	ds_read_u16 v85, v33 offset:2500
	;; [unrolled: 1-line block ×9, first 2 shown]
	ds_read_u16 v48, v40
	ds_read_u16 v50, v38
	ds_read_u16 v53, v33 offset:6000
	s_waitcnt lgkmcnt(0)
	s_barrier
	buffer_gl0_inv
	ds_write_b16 v69, v2
	ds_write_b16 v69, v87 offset:10
	ds_write_b16 v69, v88 offset:20
	;; [unrolled: 1-line block ×3, first 2 shown]
	v_add_f16_e32 v2, v5, v6
	v_add_f16_e32 v73, v4, v7
	;; [unrolled: 1-line block ×3, first 2 shown]
	v_sub_f16_e32 v74, v4, v5
	v_sub_f16_e32 v75, v7, v6
	v_fma_f16 v2, -0.5, v2, v103
	v_fmac_f16_e32 v103, -0.5, v73
	v_sub_f16_e32 v73, v81, v82
	ds_write_b16 v69, v86 offset:40
	v_sub_f16_e32 v69, v98, v100
	v_add_f16_e32 v72, v72, v5
	v_sub_f16_e32 v4, v5, v4
	v_add_f16_e32 v5, v74, v75
	v_fmamk_f16 v74, v73, 0x3b9c, v2
	v_fmamk_f16 v75, v69, 0xbb9c, v103
	v_add_f16_e32 v72, v72, v6
	v_sub_f16_e32 v6, v6, v7
	v_fmac_f16_e32 v103, 0x3b9c, v69
	v_fmac_f16_e32 v2, 0xbb9c, v73
	;; [unrolled: 1-line block ×4, first 2 shown]
	v_add_f16_e32 v4, v4, v6
	v_fmac_f16_e32 v103, 0xb8b4, v73
	v_fmac_f16_e32 v2, 0xb8b4, v69
	v_add_f16_e32 v6, v72, v7
	v_fmac_f16_e32 v74, 0x34f2, v5
	v_fmac_f16_e32 v75, 0x34f2, v4
	v_fmac_f16_e32 v103, 0x34f2, v4
	v_fmac_f16_e32 v2, 0x34f2, v5
	ds_write_b16 v70, v6
	ds_write_b16 v70, v74 offset:10
	ds_write_b16 v70, v75 offset:20
	;; [unrolled: 1-line block ×3, first 2 shown]
	v_add_f16_e32 v4, v9, v10
	v_add_f16_e32 v5, v8, v11
	;; [unrolled: 1-line block ×3, first 2 shown]
	v_sub_f16_e32 v7, v11, v10
	v_sub_f16_e32 v69, v79, v80
	v_fma_f16 v4, -0.5, v4, v102
	v_fmac_f16_e32 v102, -0.5, v5
	v_add_f16_e32 v5, v6, v9
	v_sub_f16_e32 v6, v8, v9
	ds_write_b16 v70, v2 offset:40
	v_sub_f16_e32 v2, v99, v101
	v_sub_f16_e32 v8, v9, v8
	v_add_f16_e32 v5, v5, v10
	v_add_f16_e32 v6, v6, v7
	v_fmamk_f16 v7, v69, 0x3b9c, v4
	v_sub_f16_e32 v9, v10, v11
	v_fmamk_f16 v10, v2, 0xbb9c, v102
	v_fmac_f16_e32 v102, 0x3b9c, v2
	v_fmac_f16_e32 v4, 0xbb9c, v69
	;; [unrolled: 1-line block ×3, first 2 shown]
	v_add_f16_e32 v8, v8, v9
	v_fmac_f16_e32 v10, 0x38b4, v69
	v_fmac_f16_e32 v102, 0xb8b4, v69
	;; [unrolled: 1-line block ×3, first 2 shown]
	v_add_f16_e32 v2, v5, v11
	v_fmac_f16_e32 v7, 0x34f2, v6
	v_fmac_f16_e32 v10, 0x34f2, v8
	;; [unrolled: 1-line block ×4, first 2 shown]
	ds_write_b16 v71, v2
	ds_write_b16 v71, v7 offset:10
	ds_write_b16 v71, v10 offset:20
	;; [unrolled: 1-line block ×3, first 2 shown]
	v_add_f16_e32 v2, v17, v18
	v_sub_f16_e32 v5, v16, v17
	v_sub_f16_e32 v6, v19, v18
	ds_write_b16 v71, v4 offset:40
	v_sub_f16_e32 v4, v96, v97
	v_fma_f16 v2, -0.5, v2, v0
	v_add_f16_e32 v7, v16, v19
	v_add_f16_e32 v8, v0, v16
	v_sub_f16_e32 v9, v95, v83
	v_add_f16_e32 v5, v5, v6
	v_fmamk_f16 v6, v4, 0x3b9c, v2
	v_fmac_f16_e32 v0, -0.5, v7
	v_fmac_f16_e32 v2, 0xbb9c, v4
	v_add_f16_e32 v7, v8, v17
	v_sub_f16_e32 v8, v17, v16
	v_fmac_f16_e32 v6, 0x38b4, v9
	v_sub_f16_e32 v10, v18, v19
	v_fmamk_f16 v11, v9, 0xbb9c, v0
	v_fmac_f16_e32 v0, 0x3b9c, v9
	v_fmac_f16_e32 v2, 0xb8b4, v9
	;; [unrolled: 1-line block ×3, first 2 shown]
	v_add_f16_e32 v8, v8, v10
	v_fmac_f16_e32 v11, 0x38b4, v4
	v_fmac_f16_e32 v0, 0xb8b4, v4
	;; [unrolled: 1-line block ×3, first 2 shown]
	v_add_f16_e32 v5, v89, v12
	v_add_f16_e32 v7, v7, v18
	v_fmac_f16_e32 v11, 0x34f2, v8
	v_fmac_f16_e32 v0, 0x34f2, v8
	v_add_f16_e32 v8, v13, v14
	v_add_f16_e32 v5, v5, v13
	;; [unrolled: 1-line block ×3, first 2 shown]
	v_sub_f16_e32 v7, v92, v94
	v_sub_f16_e32 v9, v12, v13
	;; [unrolled: 1-line block ×3, first 2 shown]
	v_fma_f16 v8, -0.5, v8, v89
	v_add_f16_e32 v5, v5, v14
	v_add_f16_e32 v16, v12, v15
	v_sub_f16_e32 v17, v93, v91
	v_add_f16_e32 v9, v9, v10
	v_fmamk_f16 v10, v7, 0x3b9c, v8
	v_sub_f16_e32 v12, v13, v12
	v_add_f16_e32 v5, v5, v15
	v_fmac_f16_e32 v8, 0xbb9c, v7
	v_sub_f16_e32 v13, v14, v15
	v_mul_lo_u16 v15, v46, 41
	v_fmac_f16_e32 v10, 0x38b4, v17
	v_fmac_f16_e32 v89, -0.5, v16
	v_fmac_f16_e32 v8, 0xb8b4, v17
	ds_write_b16 v3, v4
	v_lshrrev_b16 v46, 10, v15
	v_fmac_f16_e32 v10, 0x34f2, v9
	v_fmamk_f16 v14, v17, 0xbb9c, v89
	v_fmac_f16_e32 v8, 0x34f2, v9
	v_mov_b32_e32 v9, 0x47af
	v_mul_lo_u16 v4, v46, 25
	v_fmac_f16_e32 v89, 0x3b9c, v17
	v_add_f16_e32 v12, v12, v13
	v_fmac_f16_e32 v14, 0x38b4, v7
	ds_write_b16 v3, v6 offset:10
	ds_write_b16 v3, v11 offset:20
	;; [unrolled: 1-line block ×4, first 2 shown]
	v_sub_nc_u16 v69, v24, v4
	v_mul_u32_u24_sdwa v4, v26, v9 dst_sel:DWORD dst_unused:UNUSED_PAD src0_sel:WORD_0 src1_sel:DWORD
	ds_write_b16 v1, v5
	ds_write_b16 v1, v10 offset:10
	v_mul_lo_u16 v5, v44, 41
	v_fmac_f16_e32 v89, 0xb8b4, v7
	v_fmac_f16_e32 v14, 0x34f2, v12
	v_lshrrev_b32_e32 v4, 16, v4
	v_mul_u32_u24_sdwa v7, v27, v9 dst_sel:DWORD dst_unused:UNUSED_PAD src0_sel:WORD_0 src1_sel:DWORD
	v_lshrrev_b16 v44, 10, v5
	v_fmac_f16_e32 v89, 0x34f2, v12
	ds_write_b16 v1, v14 offset:20
	ds_write_b16 v1, v89 offset:30
	v_sub_nc_u16 v5, v26, v4
	ds_write_b16 v1, v8 offset:40
	v_lshrrev_b32_e32 v8, 16, v7
	v_lshlrev_b32_sdwa v0, v42, v69 dst_sel:DWORD dst_unused:UNUSED_PAD src0_sel:DWORD src1_sel:BYTE_0
	s_waitcnt lgkmcnt(0)
	v_lshrrev_b16 v5, 1, v5
	s_barrier
	v_sub_nc_u16 v10, v27, v8
	buffer_gl0_inv
	global_load_dwordx4 v[0:3], v0, s[12:13] offset:80
	v_add_nc_u16 v4, v5, v4
	v_mul_lo_u16 v6, v44, 25
	v_lshrrev_b16 v10, 1, v10
	v_mul_u32_u24_sdwa v9, v28, v9 dst_sel:DWORD dst_unused:UNUSED_PAD src0_sel:WORD_0 src1_sel:DWORD
	v_lshrrev_b16 v70, 4, v4
	v_sub_nc_u16 v71, v25, v6
	v_add_nc_u16 v8, v10, v8
	v_lshrrev_b32_e32 v9, 16, v9
	v_mul_lo_u16 v11, v70, 25
	v_lshlrev_b32_sdwa v5, v42, v71 dst_sel:DWORD dst_unused:UNUSED_PAD src0_sel:DWORD src1_sel:BYTE_0
	v_lshrrev_b16 v74, 4, v8
	v_sub_nc_u16 v8, v28, v9
	v_sub_nc_u16 v76, v26, v11
	global_load_dwordx4 v[4:7], v5, s[12:13] offset:80
	v_lshrrev_b16 v8, 1, v8
	v_lshlrev_b32_sdwa v10, v42, v76 dst_sel:DWORD dst_unused:UNUSED_PAD src0_sel:DWORD src1_sel:WORD_0
	v_add_nc_u16 v8, v8, v9
	global_load_dwordx4 v[16:19], v10, s[12:13] offset:80
	v_mul_lo_u16 v10, v74, 25
	v_lshrrev_b16 v72, 4, v8
	v_sub_nc_u16 v75, v27, v10
	v_mul_lo_u16 v8, v72, 25
	v_lshlrev_b32_sdwa v9, v42, v75 dst_sel:DWORD dst_unused:UNUSED_PAD src0_sel:DWORD src1_sel:WORD_0
	v_sub_nc_u16 v73, v28, v8
	global_load_dwordx4 v[12:15], v9, s[12:13] offset:80
	v_lshlrev_b32_sdwa v8, v42, v73 dst_sel:DWORD dst_unused:UNUSED_PAD src0_sel:DWORD src1_sel:WORD_0
	global_load_dwordx4 v[8:11], v8, s[12:13] offset:80
	ds_read_u16 v88, v33 offset:1250
	ds_read_u16 v81, v33 offset:2500
	;; [unrolled: 1-line block ×8, first 2 shown]
	ds_read_u16 v42, v33
	ds_read_u16 v99, v33 offset:5000
	s_waitcnt vmcnt(4) lgkmcnt(9)
	v_mul_f16_sdwa v87, v88, v0 dst_sel:DWORD dst_unused:UNUSED_PAD src0_sel:DWORD src1_sel:WORD_1
	v_mul_f16_sdwa v89, v84, v0 dst_sel:DWORD dst_unused:UNUSED_PAD src0_sel:DWORD src1_sel:WORD_1
	s_waitcnt lgkmcnt(8)
	v_mul_f16_sdwa v86, v81, v1 dst_sel:DWORD dst_unused:UNUSED_PAD src0_sel:DWORD src1_sel:WORD_1
	v_mul_f16_sdwa v100, v85, v1 dst_sel:DWORD dst_unused:UNUSED_PAD src0_sel:DWORD src1_sel:WORD_1
	;; [unrolled: 1-line block ×3, first 2 shown]
	v_fmac_f16_e32 v87, v84, v0
	v_fma_f16 v0, v88, v0, -v89
	ds_read_u16 v96, v33 offset:3000
	ds_read_u16 v93, v33 offset:3250
	;; [unrolled: 1-line block ×7, first 2 shown]
	v_fmac_f16_e32 v86, v85, v1
	s_waitcnt lgkmcnt(14)
	v_mul_f16_sdwa v85, v80, v2 dst_sel:DWORD dst_unused:UNUSED_PAD src0_sel:DWORD src1_sel:WORD_1
	s_waitcnt lgkmcnt(7)
	v_mul_f16_sdwa v104, v99, v3 dst_sel:DWORD dst_unused:UNUSED_PAD src0_sel:DWORD src1_sel:WORD_1
	ds_read_u16 v102, v33 offset:5250
	ds_read_u16 v97, v33 offset:5500
	;; [unrolled: 1-line block ×4, first 2 shown]
	ds_read_u16 v84, v39
	ds_read_u16 v91, v40
	;; [unrolled: 1-line block ×3, first 2 shown]
	v_fma_f16 v1, v81, v1, -v100
	v_fmac_f16_e32 v85, v68, v2
	v_mul_f16_sdwa v68, v66, v3 dst_sel:DWORD dst_unused:UNUSED_PAD src0_sel:DWORD src1_sel:WORD_1
	v_fma_f16 v2, v80, v2, -v101
	v_fmac_f16_e32 v104, v66, v3
	s_waitcnt vmcnt(3)
	v_mul_f16_sdwa v66, v79, v4 dst_sel:DWORD dst_unused:UNUSED_PAD src0_sel:DWORD src1_sel:WORD_1
	v_mul_f16_sdwa v80, v64, v4 dst_sel:DWORD dst_unused:UNUSED_PAD src0_sel:DWORD src1_sel:WORD_1
	v_fma_f16 v3, v99, v3, -v68
	v_mul_f16_sdwa v68, v77, v5 dst_sel:DWORD dst_unused:UNUSED_PAD src0_sel:DWORD src1_sel:WORD_1
	v_mul_f16_sdwa v81, v65, v5 dst_sel:DWORD dst_unused:UNUSED_PAD src0_sel:DWORD src1_sel:WORD_1
	v_fmac_f16_e32 v66, v64, v4
	v_fma_f16 v64, v79, v4, -v80
	s_waitcnt lgkmcnt(11)
	v_mul_f16_sdwa v79, v98, v6 dst_sel:DWORD dst_unused:UNUSED_PAD src0_sel:DWORD src1_sel:WORD_1
	v_mul_f16_sdwa v4, v67, v6 dst_sel:DWORD dst_unused:UNUSED_PAD src0_sel:DWORD src1_sel:WORD_1
	v_fmac_f16_e32 v68, v65, v5
	v_fma_f16 v65, v77, v5, -v81
	s_waitcnt lgkmcnt(6)
	v_mul_f16_sdwa v77, v102, v7 dst_sel:DWORD dst_unused:UNUSED_PAD src0_sel:DWORD src1_sel:WORD_1
	v_fmac_f16_e32 v79, v67, v6
	v_mul_f16_sdwa v5, v63, v7 dst_sel:DWORD dst_unused:UNUSED_PAD src0_sel:DWORD src1_sel:WORD_1
	v_fma_f16 v67, v98, v6, -v4
	s_waitcnt vmcnt(2)
	v_mul_f16_sdwa v80, v78, v16 dst_sel:DWORD dst_unused:UNUSED_PAD src0_sel:DWORD src1_sel:WORD_1
	v_mul_f16_sdwa v4, v61, v16 dst_sel:DWORD dst_unused:UNUSED_PAD src0_sel:DWORD src1_sel:WORD_1
	v_fmac_f16_e32 v77, v63, v7
	v_fma_f16 v63, v102, v7, -v5
	v_mul_f16_sdwa v81, v96, v17 dst_sel:DWORD dst_unused:UNUSED_PAD src0_sel:DWORD src1_sel:WORD_1
	v_fmac_f16_e32 v80, v61, v16
	v_mul_f16_sdwa v5, v60, v17 dst_sel:DWORD dst_unused:UNUSED_PAD src0_sel:DWORD src1_sel:WORD_1
	v_fma_f16 v61, v78, v16, -v4
	v_mul_f16_sdwa v78, v95, v18 dst_sel:DWORD dst_unused:UNUSED_PAD src0_sel:DWORD src1_sel:WORD_1
	v_mul_f16_sdwa v4, v62, v18 dst_sel:DWORD dst_unused:UNUSED_PAD src0_sel:DWORD src1_sel:WORD_1
	v_fmac_f16_e32 v81, v60, v17
	v_fma_f16 v60, v96, v17, -v5
	s_waitcnt lgkmcnt(5)
	v_mul_f16_sdwa v96, v97, v19 dst_sel:DWORD dst_unused:UNUSED_PAD src0_sel:DWORD src1_sel:WORD_1
	v_fmac_f16_e32 v78, v62, v18
	v_mul_f16_sdwa v5, v59, v19 dst_sel:DWORD dst_unused:UNUSED_PAD src0_sel:DWORD src1_sel:WORD_1
	v_fma_f16 v62, v95, v18, -v4
	s_waitcnt vmcnt(1)
	v_mul_f16_sdwa v95, v82, v12 dst_sel:DWORD dst_unused:UNUSED_PAD src0_sel:DWORD src1_sel:WORD_1
	v_mul_f16_sdwa v4, v56, v12 dst_sel:DWORD dst_unused:UNUSED_PAD src0_sel:DWORD src1_sel:WORD_1
	v_fmac_f16_e32 v96, v59, v19
	v_fma_f16 v59, v97, v19, -v5
	v_mul_f16_sdwa v97, v93, v13 dst_sel:DWORD dst_unused:UNUSED_PAD src0_sel:DWORD src1_sel:WORD_1
	v_fmac_f16_e32 v95, v56, v12
	v_mul_f16_sdwa v5, v55, v13 dst_sel:DWORD dst_unused:UNUSED_PAD src0_sel:DWORD src1_sel:WORD_1
	v_fma_f16 v56, v82, v12, -v4
	v_mul_f16_sdwa v82, v92, v14 dst_sel:DWORD dst_unused:UNUSED_PAD src0_sel:DWORD src1_sel:WORD_1
	v_mul_f16_sdwa v4, v58, v14 dst_sel:DWORD dst_unused:UNUSED_PAD src0_sel:DWORD src1_sel:WORD_1
	v_fmac_f16_e32 v97, v55, v13
	v_fma_f16 v55, v93, v13, -v5
	v_mul_f16_sdwa v5, v52, v15 dst_sel:DWORD dst_unused:UNUSED_PAD src0_sel:DWORD src1_sel:WORD_1
	v_fmac_f16_e32 v82, v58, v14
	v_fma_f16 v58, v92, v14, -v4
	s_waitcnt vmcnt(0)
	v_mul_f16_sdwa v4, v54, v8 dst_sel:DWORD dst_unused:UNUSED_PAD src0_sel:DWORD src1_sel:WORD_1
	v_mul_f16_sdwa v98, v90, v9 dst_sel:DWORD dst_unused:UNUSED_PAD src0_sel:DWORD src1_sel:WORD_1
	s_waitcnt lgkmcnt(4)
	v_mul_f16_sdwa v93, v94, v15 dst_sel:DWORD dst_unused:UNUSED_PAD src0_sel:DWORD src1_sel:WORD_1
	v_mul_f16_sdwa v92, v83, v8 dst_sel:DWORD dst_unused:UNUSED_PAD src0_sel:DWORD src1_sel:WORD_1
	v_fma_f16 v94, v94, v15, -v5
	v_fma_f16 v83, v83, v8, -v4
	v_mul_f16_sdwa v4, v57, v9 dst_sel:DWORD dst_unused:UNUSED_PAD src0_sel:DWORD src1_sel:WORD_1
	v_fmac_f16_e32 v98, v57, v9
	v_mul_f16_sdwa v57, v88, v10 dst_sel:DWORD dst_unused:UNUSED_PAD src0_sel:DWORD src1_sel:WORD_1
	v_mul_f16_sdwa v5, v51, v10 dst_sel:DWORD dst_unused:UNUSED_PAD src0_sel:DWORD src1_sel:WORD_1
	s_waitcnt lgkmcnt(3)
	v_mul_f16_sdwa v99, v89, v11 dst_sel:DWORD dst_unused:UNUSED_PAD src0_sel:DWORD src1_sel:WORD_1
	v_fmac_f16_e32 v92, v54, v8
	v_fma_f16 v9, v90, v9, -v4
	v_fmac_f16_e32 v57, v51, v10
	v_fma_f16 v10, v88, v10, -v5
	v_mul_f16_sdwa v5, v53, v11 dst_sel:DWORD dst_unused:UNUSED_PAD src0_sel:DWORD src1_sel:WORD_1
	v_add_f16_e32 v4, v86, v85
	v_fmac_f16_e32 v99, v53, v11
	v_sub_f16_e32 v7, v87, v86
	v_sub_f16_e32 v8, v104, v85
	v_fma_f16 v11, v89, v11, -v5
	v_add_f16_e32 v5, v87, v104
	v_fma_f16 v4, -0.5, v4, v49
	v_sub_f16_e32 v13, v1, v2
	v_add_f16_e32 v7, v7, v8
	v_add_f16_e32 v8, v49, v87
	v_fmac_f16_e32 v49, -0.5, v5
	v_fmac_f16_e32 v93, v52, v15
	v_sub_f16_e32 v6, v0, v3
	v_sub_f16_e32 v5, v86, v87
	v_sub_f16_e32 v14, v85, v104
	v_fmamk_f16 v15, v13, 0x3b9c, v49
	v_fmac_f16_e32 v49, 0xbb9c, v13
	v_fmamk_f16 v12, v6, 0xbb9c, v4
	v_fmac_f16_e32 v4, 0x3b9c, v6
	v_add_f16_e32 v5, v5, v14
	v_fmac_f16_e32 v15, 0xb8b4, v6
	v_fmac_f16_e32 v49, 0x38b4, v6
	;; [unrolled: 1-line block ×4, first 2 shown]
	v_add_f16_e32 v8, v8, v86
	v_fmac_f16_e32 v15, 0x34f2, v5
	v_fmac_f16_e32 v49, 0x34f2, v5
	v_add_f16_e32 v5, v1, v2
	v_fmac_f16_e32 v12, 0x34f2, v7
	v_fmac_f16_e32 v4, 0x34f2, v7
	v_sub_f16_e32 v7, v87, v104
	v_add_f16_e32 v14, v42, v0
	v_fma_f16 v87, -0.5, v5, v42
	v_add_f16_e32 v5, v0, v3
	v_add_f16_e32 v6, v8, v85
	v_sub_f16_e32 v8, v0, v1
	v_sub_f16_e32 v16, v86, v85
	;; [unrolled: 1-line block ×3, first 2 shown]
	v_fmac_f16_e32 v42, -0.5, v5
	v_add_f16_e32 v5, v14, v1
	v_sub_f16_e32 v1, v2, v3
	v_sub_f16_e32 v13, v3, v2
	v_fmamk_f16 v85, v7, 0x3b9c, v87
	v_fmac_f16_e32 v87, 0xbb9c, v7
	v_fmamk_f16 v86, v16, 0xbb9c, v42
	v_fmac_f16_e32 v42, 0x3b9c, v16
	v_add_f16_e32 v2, v5, v2
	v_add_f16_e32 v0, v0, v1
	;; [unrolled: 1-line block ×4, first 2 shown]
	v_fmac_f16_e32 v85, 0x38b4, v16
	v_fmac_f16_e32 v87, 0xb8b4, v16
	;; [unrolled: 1-line block ×4, first 2 shown]
	v_add_f16_e32 v2, v2, v3
	v_fma_f16 v1, -0.5, v1, v50
	v_sub_f16_e32 v3, v64, v63
	v_fmac_f16_e32 v85, 0x34f2, v8
	v_fmac_f16_e32 v87, 0x34f2, v8
	v_fmac_f16_e32 v86, 0x34f2, v0
	v_fmac_f16_e32 v42, 0x34f2, v0
	v_sub_f16_e32 v0, v66, v68
	v_sub_f16_e32 v5, v77, v79
	v_fmamk_f16 v7, v3, 0xbb9c, v1
	v_sub_f16_e32 v8, v65, v67
	v_add_f16_e32 v13, v66, v77
	v_fmac_f16_e32 v1, 0x3b9c, v3
	v_add_f16_e32 v0, v0, v5
	v_add_f16_e32 v5, v50, v66
	v_fmac_f16_e32 v7, 0xb8b4, v8
	v_fmac_f16_e32 v50, -0.5, v13
	v_fmac_f16_e32 v1, 0x38b4, v8
	v_sub_f16_e32 v13, v68, v66
	v_sub_f16_e32 v14, v79, v77
	v_fmac_f16_e32 v7, 0x34f2, v0
	v_fmamk_f16 v16, v8, 0x3b9c, v50
	v_fmac_f16_e32 v50, 0xbb9c, v8
	v_fmac_f16_e32 v1, 0x34f2, v0
	v_add_f16_e32 v0, v81, v78
	v_add_f16_e32 v8, v13, v14
	v_fmac_f16_e32 v16, 0xb8b4, v3
	v_sub_f16_e32 v13, v80, v81
	v_sub_f16_e32 v14, v96, v78
	v_fma_f16 v0, -0.5, v0, v48
	v_sub_f16_e32 v17, v61, v59
	v_fmac_f16_e32 v50, 0x38b4, v3
	v_add_f16_e32 v3, v80, v96
	v_add_f16_e32 v13, v13, v14
	;; [unrolled: 1-line block ×3, first 2 shown]
	v_fmamk_f16 v18, v17, 0xbb9c, v0
	v_sub_f16_e32 v19, v60, v62
	v_fmac_f16_e32 v48, -0.5, v3
	v_fmac_f16_e32 v0, 0x3b9c, v17
	v_sub_f16_e32 v3, v81, v80
	v_sub_f16_e32 v51, v78, v96
	v_fmac_f16_e32 v18, 0xb8b4, v19
	v_fmamk_f16 v52, v19, 0x3b9c, v48
	v_fmac_f16_e32 v48, 0xbb9c, v19
	v_fmac_f16_e32 v0, 0x38b4, v19
	v_add_f16_e32 v19, v97, v82
	v_add_f16_e32 v3, v3, v51
	v_fmac_f16_e32 v52, 0xb8b4, v17
	v_fmac_f16_e32 v48, 0x38b4, v17
	;; [unrolled: 1-line block ×4, first 2 shown]
	v_fma_f16 v8, -0.5, v19, v45
	v_sub_f16_e32 v17, v56, v94
	v_sub_f16_e32 v19, v95, v97
	v_sub_f16_e32 v51, v93, v82
	v_fmac_f16_e32 v18, 0x34f2, v13
	v_fmac_f16_e32 v0, 0x34f2, v13
	v_fmamk_f16 v13, v17, 0xbb9c, v8
	v_sub_f16_e32 v53, v55, v58
	v_add_f16_e32 v19, v19, v51
	v_add_f16_e32 v51, v95, v93
	v_fmac_f16_e32 v8, 0x3b9c, v17
	v_fmac_f16_e32 v52, 0x34f2, v3
	;; [unrolled: 1-line block ×4, first 2 shown]
	v_add_f16_e32 v3, v45, v95
	v_fmac_f16_e32 v45, -0.5, v51
	v_fmac_f16_e32 v8, 0x38b4, v53
	v_fmac_f16_e32 v13, 0x34f2, v19
	v_sub_f16_e32 v51, v97, v95
	v_sub_f16_e32 v54, v82, v93
	v_fmamk_f16 v88, v53, 0x3b9c, v45
	v_fmac_f16_e32 v8, 0x34f2, v19
	v_fmac_f16_e32 v45, 0xbb9c, v53
	v_add_f16_e32 v19, v98, v57
	v_add_f16_e32 v51, v51, v54
	v_fmac_f16_e32 v88, 0xb8b4, v17
	v_sub_f16_e32 v53, v92, v98
	v_sub_f16_e32 v54, v99, v57
	v_fma_f16 v19, -0.5, v19, v47
	v_sub_f16_e32 v89, v83, v11
	v_fmac_f16_e32 v45, 0x38b4, v17
	v_add_f16_e32 v17, v92, v99
	v_add_f16_e32 v53, v53, v54
	v_add_f16_e32 v54, v47, v92
	v_fmamk_f16 v90, v89, 0xbb9c, v19
	v_sub_f16_e32 v100, v9, v10
	v_fmac_f16_e32 v47, -0.5, v17
	v_fmac_f16_e32 v19, 0x3b9c, v89
	v_fmac_f16_e32 v88, 0x34f2, v51
	;; [unrolled: 1-line block ×4, first 2 shown]
	v_fmamk_f16 v102, v100, 0x3b9c, v47
	v_fmac_f16_e32 v47, 0xbb9c, v100
	v_fmac_f16_e32 v19, 0x38b4, v100
	v_mov_b32_e32 v100, 0xfa
	v_lshlrev_b32_sdwa v51, v43, v69 dst_sel:DWORD dst_unused:UNUSED_PAD src0_sel:DWORD src1_sel:BYTE_0
	v_add_f16_e32 v6, v6, v104
	v_add_f16_e32 v5, v5, v68
	v_fmac_f16_e32 v102, 0xb8b4, v89
	v_mul_u32_u24_sdwa v46, v46, v100 dst_sel:DWORD dst_unused:UNUSED_PAD src0_sel:WORD_0 src1_sel:DWORD
	v_fmac_f16_e32 v47, 0x38b4, v89
	ds_read_u16 v89, v41
	s_waitcnt lgkmcnt(0)
	s_barrier
	v_add3_u32 v69, 0, v46, v51
	buffer_gl0_inv
	ds_write_b16 v69, v6
	ds_write_b16 v69, v12 offset:50
	v_mul_u32_u24_sdwa v6, v44, v100 dst_sel:DWORD dst_unused:UNUSED_PAD src0_sel:WORD_0 src1_sel:DWORD
	v_lshlrev_b32_sdwa v12, v43, v71 dst_sel:DWORD dst_unused:UNUSED_PAD src0_sel:DWORD src1_sel:BYTE_0
	v_add_f16_e32 v14, v14, v81
	v_add_f16_e32 v5, v5, v79
	;; [unrolled: 1-line block ×3, first 2 shown]
	ds_write_b16 v69, v15 offset:100
	ds_write_b16 v69, v49 offset:150
	v_add3_u32 v71, 0, v6, v12
	v_mul_u32_u24_sdwa v6, v70, v100 dst_sel:DWORD dst_unused:UNUSED_PAD src0_sel:WORD_0 src1_sel:DWORD
	v_lshlrev_b32_sdwa v12, v43, v76 dst_sel:DWORD dst_unused:UNUSED_PAD src0_sel:DWORD src1_sel:WORD_0
	v_add_f16_e32 v14, v14, v78
	v_add_f16_e32 v5, v5, v77
	ds_write_b16 v69, v4 offset:200
	ds_write_b16 v71, v5
	ds_write_b16 v71, v7 offset:50
	v_add3_u32 v70, 0, v6, v12
	v_add_f16_e32 v4, v14, v96
	v_sub_f16_e32 v17, v98, v92
	v_sub_f16_e32 v101, v57, v99
	ds_write_b16 v71, v16 offset:100
	ds_write_b16 v71, v50 offset:150
	;; [unrolled: 1-line block ×3, first 2 shown]
	ds_write_b16 v70, v4
	v_mul_u32_u24_sdwa v1, v74, v100 dst_sel:DWORD dst_unused:UNUSED_PAD src0_sel:WORD_0 src1_sel:DWORD
	v_lshlrev_b32_sdwa v4, v43, v75 dst_sel:DWORD dst_unused:UNUSED_PAD src0_sel:DWORD src1_sel:WORD_0
	v_add_f16_e32 v3, v3, v82
	v_add_f16_e32 v5, v54, v98
	;; [unrolled: 1-line block ×3, first 2 shown]
	v_fmac_f16_e32 v19, 0x34f2, v53
	v_add3_u32 v74, 0, v1, v4
	v_add_f16_e32 v1, v3, v93
	v_mul_u32_u24_sdwa v3, v72, v100 dst_sel:DWORD dst_unused:UNUSED_PAD src0_sel:WORD_0 src1_sel:DWORD
	v_lshlrev_b32_sdwa v4, v43, v73 dst_sel:DWORD dst_unused:UNUSED_PAD src0_sel:DWORD src1_sel:WORD_0
	v_add_f16_e32 v5, v5, v57
	v_fmac_f16_e32 v47, 0x34f2, v17
	ds_write_b16 v70, v18 offset:50
	ds_write_b16 v70, v52 offset:100
	;; [unrolled: 1-line block ×4, first 2 shown]
	ds_write_b16 v74, v1
	v_add3_u32 v72, 0, v3, v4
	v_add_f16_e32 v0, v5, v99
	v_fmac_f16_e32 v90, 0x34f2, v53
	v_fmac_f16_e32 v102, 0x34f2, v17
	ds_write_b16 v74, v13 offset:50
	ds_write_b16 v74, v88 offset:100
	;; [unrolled: 1-line block ×4, first 2 shown]
	ds_write_b16 v72, v0
	ds_write_b16 v72, v90 offset:50
	ds_write_b16 v72, v102 offset:100
	;; [unrolled: 1-line block ×4, first 2 shown]
	s_waitcnt lgkmcnt(0)
	s_barrier
	buffer_gl0_inv
	ds_read_u16 v4, v39
	ds_read_u16 v6, v33
	ds_read_u16 v52, v33 offset:1250
	ds_read_u16 v48, v33 offset:1500
	;; [unrolled: 1-line block ×10, first 2 shown]
	ds_read_u16 v5, v41
	ds_read_u16 v49, v33 offset:2750
	ds_read_u16 v54, v33 offset:2500
	;; [unrolled: 1-line block ×9, first 2 shown]
	ds_read_u16 v7, v40
	ds_read_u16 v8, v38
	ds_read_u16 v12, v33 offset:6000
	s_waitcnt lgkmcnt(0)
	s_barrier
	buffer_gl0_inv
	ds_write_b16 v69, v2
	ds_write_b16 v69, v85 offset:50
	ds_write_b16 v69, v86 offset:100
	ds_write_b16 v69, v42 offset:150
	v_add_f16_e32 v0, v65, v67
	v_add_f16_e32 v1, v64, v63
	;; [unrolled: 1-line block ×3, first 2 shown]
	v_sub_f16_e32 v42, v63, v67
	v_sub_f16_e32 v66, v66, v77
	v_fma_f16 v0, -0.5, v0, v103
	v_fmac_f16_e32 v103, -0.5, v1
	v_add_f16_e32 v1, v2, v65
	v_sub_f16_e32 v2, v64, v65
	v_sub_f16_e32 v3, v68, v79
	;; [unrolled: 1-line block ×4, first 2 shown]
	v_add_f16_e32 v1, v1, v67
	v_add_f16_e32 v2, v2, v42
	v_fmamk_f16 v42, v66, 0x3b9c, v0
	v_fmamk_f16 v67, v3, 0xbb9c, v103
	v_fmac_f16_e32 v103, 0x3b9c, v3
	v_fmac_f16_e32 v0, 0xbb9c, v66
	v_add_f16_e32 v64, v64, v65
	v_fmac_f16_e32 v42, 0x38b4, v3
	v_fmac_f16_e32 v67, 0x38b4, v66
	v_fmac_f16_e32 v103, 0xb8b4, v66
	v_fmac_f16_e32 v0, 0xb8b4, v3
	v_add_f16_e32 v1, v1, v63
	v_fmac_f16_e32 v42, 0x34f2, v2
	v_fmac_f16_e32 v67, 0x34f2, v64
	;; [unrolled: 1-line block ×3, first 2 shown]
	ds_write_b16 v69, v87 offset:200
	v_fmac_f16_e32 v0, 0x34f2, v2
	ds_write_b16 v71, v1
	ds_write_b16 v71, v42 offset:50
	ds_write_b16 v71, v67 offset:100
	;; [unrolled: 1-line block ×3, first 2 shown]
	v_add_f16_e32 v1, v60, v62
	v_sub_f16_e32 v2, v61, v60
	v_sub_f16_e32 v3, v59, v62
	ds_write_b16 v71, v0 offset:200
	v_sub_f16_e32 v0, v80, v96
	v_fma_f16 v1, -0.5, v1, v91
	v_add_f16_e32 v42, v61, v59
	v_add_f16_e32 v63, v91, v61
	v_sub_f16_e32 v64, v81, v78
	v_add_f16_e32 v2, v2, v3
	v_fmamk_f16 v3, v0, 0x3b9c, v1
	v_fmac_f16_e32 v91, -0.5, v42
	v_fmac_f16_e32 v1, 0xbb9c, v0
	v_add_f16_e32 v42, v63, v60
	v_sub_f16_e32 v60, v60, v61
	v_fmac_f16_e32 v3, 0x38b4, v64
	v_sub_f16_e32 v61, v62, v59
	v_fmamk_f16 v63, v64, 0xbb9c, v91
	v_fmac_f16_e32 v91, 0x3b9c, v64
	v_fmac_f16_e32 v1, 0xb8b4, v64
	v_add_f16_e32 v42, v42, v62
	v_add_f16_e32 v60, v60, v61
	v_fmac_f16_e32 v63, 0x38b4, v0
	v_fmac_f16_e32 v91, 0xb8b4, v0
	;; [unrolled: 1-line block ×4, first 2 shown]
	v_add_f16_e32 v2, v55, v58
	v_add_f16_e32 v61, v56, v94
	;; [unrolled: 1-line block ×4, first 2 shown]
	v_fmac_f16_e32 v63, 0x34f2, v60
	v_fmac_f16_e32 v91, 0x34f2, v60
	v_sub_f16_e32 v42, v95, v93
	v_sub_f16_e32 v59, v56, v55
	;; [unrolled: 1-line block ×3, first 2 shown]
	v_fma_f16 v2, -0.5, v2, v84
	v_sub_f16_e32 v64, v97, v82
	v_fmac_f16_e32 v84, -0.5, v61
	v_add_f16_e32 v61, v62, v55
	v_sub_f16_e32 v55, v55, v56
	v_sub_f16_e32 v56, v58, v94
	v_add_f16_e32 v59, v59, v60
	v_fmamk_f16 v60, v42, 0x3b9c, v2
	v_fmac_f16_e32 v2, 0xbb9c, v42
	v_fmamk_f16 v62, v64, 0xbb9c, v84
	v_fmac_f16_e32 v84, 0x3b9c, v64
	v_add_f16_e32 v58, v61, v58
	v_add_f16_e32 v55, v55, v56
	;; [unrolled: 1-line block ×4, first 2 shown]
	v_fmac_f16_e32 v60, 0x38b4, v64
	v_fmac_f16_e32 v2, 0xb8b4, v64
	;; [unrolled: 1-line block ×4, first 2 shown]
	v_fma_f16 v56, -0.5, v56, v89
	v_add_f16_e32 v64, v89, v83
	v_sub_f16_e32 v57, v98, v57
	v_fmac_f16_e32 v89, -0.5, v61
	v_add_f16_e32 v42, v58, v94
	v_fmac_f16_e32 v60, 0x34f2, v59
	v_fmac_f16_e32 v62, 0x34f2, v55
	;; [unrolled: 1-line block ×3, first 2 shown]
	v_sub_f16_e32 v55, v92, v99
	v_sub_f16_e32 v58, v83, v9
	v_add_f16_e32 v61, v64, v9
	v_sub_f16_e32 v9, v9, v83
	v_sub_f16_e32 v64, v10, v11
	v_fmamk_f16 v65, v57, 0xbb9c, v89
	v_fmac_f16_e32 v89, 0x3b9c, v57
	ds_write_b16 v70, v0
	ds_write_b16 v70, v3 offset:50
	ds_write_b16 v70, v63 offset:100
	;; [unrolled: 1-line block ×4, first 2 shown]
	ds_write_b16 v74, v42
	v_lshlrev_b32_e32 v0, 2, v24
	v_mov_b32_e32 v1, 0
	v_fmac_f16_e32 v2, 0x34f2, v59
	v_sub_f16_e32 v59, v11, v10
	v_add_f16_e32 v9, v9, v64
	v_fmac_f16_e32 v65, 0x38b4, v55
	v_fmac_f16_e32 v89, 0xb8b4, v55
	ds_write_b16 v74, v60 offset:50
	ds_write_b16 v74, v62 offset:100
	;; [unrolled: 1-line block ×4, first 2 shown]
	v_lshlrev_b64 v[2:3], 2, v[0:1]
	v_mov_b32_e32 v0, 0x625
	v_add_f16_e32 v58, v58, v59
	v_fmamk_f16 v59, v55, 0x3b9c, v56
	v_add_f16_e32 v10, v61, v10
	v_fmac_f16_e32 v65, 0x34f2, v9
	v_fmac_f16_e32 v89, 0x34f2, v9
	v_mul_u32_u24_sdwa v9, v26, v0 dst_sel:DWORD dst_unused:UNUSED_PAD src0_sel:WORD_0 src1_sel:DWORD
	v_fmac_f16_e32 v59, 0x38b4, v57
	v_add_f16_e32 v10, v10, v11
	v_mul_u32_u24_sdwa v11, v27, v0 dst_sel:DWORD dst_unused:UNUSED_PAD src0_sel:WORD_0 src1_sel:DWORD
	v_mul_u32_u24_sdwa v0, v28, v0 dst_sel:DWORD dst_unused:UNUSED_PAD src0_sel:WORD_0 src1_sel:DWORD
	v_lshrrev_b32_e32 v9, 16, v9
	v_fmac_f16_e32 v59, 0x34f2, v58
	ds_write_b16 v72, v10
	ds_write_b16 v72, v59 offset:50
	ds_write_b16 v72, v65 offset:100
	;; [unrolled: 1-line block ×3, first 2 shown]
	v_sub_nc_u16 v10, v26, v9
	v_fmac_f16_e32 v56, 0xbb9c, v55
	v_lshrrev_b32_e32 v0, 16, v0
	v_add_co_u32 v2, s0, s12, v2
	v_lshrrev_b16 v10, 1, v10
	v_fmac_f16_e32 v56, 0xb8b4, v57
	v_add_co_ci_u32_e64 v3, s0, s13, v3, s0
	v_add_nc_u16 v9, v10, v9
	v_lshrrev_b32_e32 v10, 16, v11
	v_fmac_f16_e32 v56, 0x34f2, v58
	v_lshrrev_b16 v9, 6, v9
	v_sub_nc_u16 v11, v27, v10
	ds_write_b16 v72, v56 offset:200
	s_waitcnt lgkmcnt(0)
	s_barrier
	v_mul_lo_u16 v9, 0x7d, v9
	v_lshrrev_b16 v11, 1, v11
	buffer_gl0_inv
	global_load_dwordx4 v[55:58], v[2:3], off offset:480
	v_sub_nc_u16 v9, v26, v9
	v_add_nc_u16 v10, v11, v10
	v_sub_nc_u16 v11, v28, v0
	v_and_b32_e32 v9, 0xffff, v9
	v_lshrrev_b16 v10, 6, v10
	v_lshrrev_b16 v11, 1, v11
	v_lshlrev_b32_e32 v42, 4, v9
	v_mul_lo_u16 v10, 0x7d, v10
	v_add_nc_u16 v0, v11, v0
	global_load_dwordx4 v[59:62], v42, s[12:13] offset:480
	v_sub_nc_u16 v10, v27, v10
	v_lshrrev_b16 v0, 6, v0
	v_and_b32_e32 v10, 0xffff, v10
	v_mul_lo_u16 v0, 0x7d, v0
	v_lshlrev_b32_e32 v11, 4, v10
	v_sub_nc_u16 v0, v28, v0
	global_load_dwordx4 v[67:70], v11, s[12:13] offset:480
	v_and_b32_e32 v0, 0xffff, v0
	v_lshlrev_b32_e32 v11, 4, v0
	v_lshl_add_u32 v0, v0, 1, 0
	global_load_dwordx4 v[71:74], v11, s[12:13] offset:480
	ds_read_u16 v42, v33 offset:1250
	ds_read_u16 v63, v33 offset:2500
	ds_read_u16 v64, v33 offset:3750
	ds_read_u16 v65, v33 offset:5000
	ds_read_u16 v66, v33 offset:2750
	ds_read_u16 v75, v33 offset:1500
	ds_read_u16 v76, v33 offset:1750
	ds_read_u16 v77, v33 offset:2000
	ds_read_u16 v78, v33 offset:2250
	ds_read_u16 v11, v33
	s_waitcnt vmcnt(3) lgkmcnt(9)
	v_mul_f16_sdwa v79, v42, v55 dst_sel:DWORD dst_unused:UNUSED_PAD src0_sel:DWORD src1_sel:WORD_1
	v_mul_f16_sdwa v80, v52, v55 dst_sel:DWORD dst_unused:UNUSED_PAD src0_sel:DWORD src1_sel:WORD_1
	s_waitcnt lgkmcnt(8)
	v_mul_f16_sdwa v81, v63, v56 dst_sel:DWORD dst_unused:UNUSED_PAD src0_sel:DWORD src1_sel:WORD_1
	s_waitcnt lgkmcnt(7)
	v_mul_f16_sdwa v87, v64, v57 dst_sel:DWORD dst_unused:UNUSED_PAD src0_sel:DWORD src1_sel:WORD_1
	v_mul_f16_sdwa v88, v53, v57 dst_sel:DWORD dst_unused:UNUSED_PAD src0_sel:DWORD src1_sel:WORD_1
	;; [unrolled: 1-line block ×3, first 2 shown]
	v_fmac_f16_e32 v79, v52, v55
	v_fma_f16 v52, v42, v55, -v80
	v_fmac_f16_e32 v81, v54, v56
	ds_read_u16 v42, v33 offset:4000
	ds_read_u16 v54, v33 offset:4250
	;; [unrolled: 1-line block ×11, first 2 shown]
	s_waitcnt lgkmcnt(17)
	v_mul_f16_sdwa v93, v65, v58 dst_sel:DWORD dst_unused:UNUSED_PAD src0_sel:DWORD src1_sel:WORD_1
	v_fmac_f16_e32 v87, v53, v57
	v_fma_f16 v53, v64, v57, -v88
	s_waitcnt lgkmcnt(15)
	v_mul_f16_sdwa v88, v75, v55 dst_sel:DWORD dst_unused:UNUSED_PAD src0_sel:DWORD src1_sel:WORD_1
	v_fma_f16 v82, v63, v56, -v82
	v_mul_f16_sdwa v63, v50, v58 dst_sel:DWORD dst_unused:UNUSED_PAD src0_sel:DWORD src1_sel:WORD_1
	v_fmac_f16_e32 v93, v50, v58
	v_mul_f16_sdwa v50, v48, v55 dst_sel:DWORD dst_unused:UNUSED_PAD src0_sel:DWORD src1_sel:WORD_1
	v_fmac_f16_e32 v88, v48, v55
	v_mul_f16_sdwa v48, v51, v57 dst_sel:DWORD dst_unused:UNUSED_PAD src0_sel:DWORD src1_sel:WORD_1
	v_mul_f16_sdwa v94, v66, v56 dst_sel:DWORD dst_unused:UNUSED_PAD src0_sel:DWORD src1_sel:WORD_1
	v_fma_f16 v65, v65, v58, -v63
	s_waitcnt lgkmcnt(10)
	v_mul_f16_sdwa v95, v42, v57 dst_sel:DWORD dst_unused:UNUSED_PAD src0_sel:DWORD src1_sel:WORD_1
	v_mul_f16_sdwa v63, v49, v56 dst_sel:DWORD dst_unused:UNUSED_PAD src0_sel:DWORD src1_sel:WORD_1
	v_fma_f16 v98, v42, v57, -v48
	s_waitcnt vmcnt(2)
	v_mul_f16_sdwa v42, v44, v59 dst_sel:DWORD dst_unused:UNUSED_PAD src0_sel:DWORD src1_sel:WORD_1
	s_waitcnt lgkmcnt(3)
	v_mul_f16_sdwa v96, v89, v58 dst_sel:DWORD dst_unused:UNUSED_PAD src0_sel:DWORD src1_sel:WORD_1
	v_mul_f16_sdwa v99, v76, v59 dst_sel:DWORD dst_unused:UNUSED_PAD src0_sel:DWORD src1_sel:WORD_1
	s_waitcnt lgkmcnt(2)
	v_mul_f16_sdwa v102, v90, v62 dst_sel:DWORD dst_unused:UNUSED_PAD src0_sel:DWORD src1_sel:WORD_1
	v_fmac_f16_e32 v94, v49, v56
	v_fma_f16 v76, v76, v59, -v42
	v_mul_f16_sdwa v42, v46, v61 dst_sel:DWORD dst_unused:UNUSED_PAD src0_sel:DWORD src1_sel:WORD_1
	v_fma_f16 v97, v66, v56, -v63
	v_mul_f16_sdwa v49, v47, v58 dst_sel:DWORD dst_unused:UNUSED_PAD src0_sel:DWORD src1_sel:WORD_1
	v_fmac_f16_e32 v96, v47, v58
	v_mul_f16_sdwa v100, v84, v60 dst_sel:DWORD dst_unused:UNUSED_PAD src0_sel:DWORD src1_sel:WORD_1
	v_mul_f16_sdwa v47, v45, v60 dst_sel:DWORD dst_unused:UNUSED_PAD src0_sel:DWORD src1_sel:WORD_1
	v_fmac_f16_e32 v99, v44, v59
	v_mul_f16_sdwa v101, v54, v61 dst_sel:DWORD dst_unused:UNUSED_PAD src0_sel:DWORD src1_sel:WORD_1
	v_mul_f16_sdwa v44, v43, v62 dst_sel:DWORD dst_unused:UNUSED_PAD src0_sel:DWORD src1_sel:WORD_1
	v_fma_f16 v103, v54, v61, -v42
	v_fmac_f16_e32 v102, v43, v62
	s_waitcnt vmcnt(1)
	v_mul_f16_sdwa v66, v77, v67 dst_sel:DWORD dst_unused:UNUSED_PAD src0_sel:DWORD src1_sel:WORD_1
	v_mul_f16_sdwa v42, v17, v67 dst_sel:DWORD dst_unused:UNUSED_PAD src0_sel:DWORD src1_sel:WORD_1
	;; [unrolled: 1-line block ×4, first 2 shown]
	v_fmac_f16_e32 v100, v45, v60
	v_fma_f16 v84, v84, v60, -v47
	v_fmac_f16_e32 v101, v46, v61
	v_fmac_f16_e32 v66, v17, v67
	v_fma_f16 v60, v77, v67, -v42
	v_fmac_f16_e32 v64, v18, v68
	v_fma_f16 v61, v85, v68, -v43
	v_mul_f16_sdwa v67, v80, v69 dst_sel:DWORD dst_unused:UNUSED_PAD src0_sel:DWORD src1_sel:WORD_1
	s_waitcnt lgkmcnt(1)
	v_mul_f16_sdwa v68, v91, v70 dst_sel:DWORD dst_unused:UNUSED_PAD src0_sel:DWORD src1_sel:WORD_1
	s_waitcnt vmcnt(0)
	v_mul_f16_sdwa v47, v83, v73 dst_sel:DWORD dst_unused:UNUSED_PAD src0_sel:DWORD src1_sel:WORD_1
	v_mul_f16_sdwa v17, v19, v69 dst_sel:DWORD dst_unused:UNUSED_PAD src0_sel:DWORD src1_sel:WORD_1
	;; [unrolled: 1-line block ×4, first 2 shown]
	v_fmac_f16_e32 v67, v19, v69
	v_fmac_f16_e32 v68, v14, v70
	v_mul_f16_sdwa v14, v15, v71 dst_sel:DWORD dst_unused:UNUSED_PAD src0_sel:DWORD src1_sel:WORD_1
	v_mul_f16_sdwa v46, v86, v72 dst_sel:DWORD dst_unused:UNUSED_PAD src0_sel:DWORD src1_sel:WORD_1
	;; [unrolled: 1-line block ×3, first 2 shown]
	v_fmac_f16_e32 v47, v13, v73
	v_add_f16_e32 v13, v81, v87
	v_add_f16_e32 v43, v79, v93
	v_fma_f16 v89, v89, v58, -v49
	v_fma_f16 v90, v90, v62, -v44
	;; [unrolled: 1-line block ×3, first 2 shown]
	v_fmac_f16_e32 v48, v15, v71
	v_mul_f16_sdwa v15, v16, v72 dst_sel:DWORD dst_unused:UNUSED_PAD src0_sel:DWORD src1_sel:WORD_1
	v_fma_f16 v17, v78, v71, -v14
	v_fmac_f16_e32 v46, v16, v72
	v_fma_f16 v14, v83, v73, -v19
	s_waitcnt lgkmcnt(0)
	v_mul_f16_sdwa v49, v92, v74 dst_sel:DWORD dst_unused:UNUSED_PAD src0_sel:DWORD src1_sel:WORD_1
	v_sub_f16_e32 v16, v79, v81
	v_fma_f16 v13, -0.5, v13, v6
	v_sub_f16_e32 v19, v52, v65
	v_sub_f16_e32 v42, v93, v87
	;; [unrolled: 1-line block ×3, first 2 shown]
	v_add_f16_e32 v45, v6, v79
	v_fmac_f16_e32 v6, -0.5, v43
	v_fma_f16 v63, v91, v70, -v18
	v_fma_f16 v18, v86, v72, -v15
	v_mul_f16_sdwa v15, v12, v74 dst_sel:DWORD dst_unused:UNUSED_PAD src0_sel:DWORD src1_sel:WORD_1
	v_fmac_f16_e32 v49, v12, v74
	v_fmamk_f16 v12, v19, 0xbb9c, v13
	v_add_f16_e32 v42, v16, v42
	v_fmac_f16_e32 v13, 0x3b9c, v19
	v_fmamk_f16 v16, v44, 0x3b9c, v6
	v_fmac_f16_e32 v6, 0xbb9c, v44
	v_add_f16_e32 v45, v45, v81
	v_fma_f16 v75, v75, v55, -v50
	v_fmac_f16_e32 v12, 0xb8b4, v44
	v_sub_f16_e32 v43, v81, v79
	v_sub_f16_e32 v50, v87, v93
	v_fmac_f16_e32 v13, 0x38b4, v44
	v_fmac_f16_e32 v16, 0xb8b4, v19
	;; [unrolled: 1-line block ×3, first 2 shown]
	v_add_f16_e32 v19, v45, v87
	v_add_f16_e32 v43, v43, v50
	v_fmac_f16_e32 v12, 0x34f2, v42
	v_fmac_f16_e32 v13, 0x34f2, v42
	v_add_f16_e32 v42, v82, v53
	v_add_f16_e32 v45, v19, v93
	;; [unrolled: 1-line block ×4, first 2 shown]
	v_fmac_f16_e32 v95, v51, v57
	v_fmac_f16_e32 v16, 0x34f2, v43
	;; [unrolled: 1-line block ×3, first 2 shown]
	v_sub_f16_e32 v43, v52, v82
	v_sub_f16_e32 v44, v65, v53
	v_add_f16_e32 v51, v19, v82
	v_fma_f16 v19, -0.5, v42, v11
	v_sub_f16_e32 v54, v81, v87
	v_fmac_f16_e32 v11, -0.5, v55
	v_sub_f16_e32 v50, v79, v93
	v_add_f16_e32 v56, v43, v44
	v_add_f16_e32 v43, v51, v53
	v_sub_f16_e32 v51, v82, v52
	v_fmamk_f16 v44, v54, 0xbb9c, v11
	v_fmac_f16_e32 v11, 0x3b9c, v54
	v_fmamk_f16 v42, v50, 0x3b9c, v19
	v_fmac_f16_e32 v19, 0xbb9c, v50
	v_sub_f16_e32 v52, v53, v65
	v_add_f16_e32 v53, v94, v95
	v_fmac_f16_e32 v44, 0x38b4, v50
	v_fmac_f16_e32 v11, 0xb8b4, v50
	ds_read_u16 v50, v38
	v_fmac_f16_e32 v42, 0x38b4, v54
	v_fmac_f16_e32 v19, 0xb8b4, v54
	v_add_f16_e32 v54, v51, v52
	v_fma_f16 v51, -0.5, v53, v8
	v_add_f16_e32 v53, v88, v96
	v_add_f16_e32 v57, v8, v88
	;; [unrolled: 1-line block ×3, first 2 shown]
	v_fmac_f16_e32 v42, 0x34f2, v56
	v_fmac_f16_e32 v19, 0x34f2, v56
	v_fmac_f16_e32 v8, -0.5, v53
	v_sub_f16_e32 v53, v97, v98
	v_sub_f16_e32 v52, v88, v94
	;; [unrolled: 1-line block ×4, first 2 shown]
	v_add_f16_e32 v57, v57, v94
	v_fmamk_f16 v65, v53, 0x3b9c, v8
	v_fmac_f16_e32 v8, 0xbb9c, v53
	v_add_f16_e32 v55, v52, v55
	v_fmamk_f16 v52, v56, 0xbb9c, v51
	v_fmac_f16_e32 v51, 0x3b9c, v56
	v_fmac_f16_e32 v65, 0xb8b4, v56
	;; [unrolled: 1-line block ×5, first 2 shown]
	v_add_f16_e32 v54, v57, v95
	s_waitcnt lgkmcnt(0)
	v_add_f16_e32 v56, v50, v75
	v_add_f16_e32 v57, v97, v98
	v_sub_f16_e32 v58, v94, v88
	v_sub_f16_e32 v59, v95, v96
	;; [unrolled: 1-line block ×3, first 2 shown]
	v_add_f16_e32 v71, v56, v97
	v_fma_f16 v56, -0.5, v57, v50
	v_add_f16_e32 v73, v75, v89
	v_fmac_f16_e32 v52, 0xb8b4, v53
	v_fmac_f16_e32 v51, 0x38b4, v53
	v_add_f16_e32 v53, v58, v59
	v_sub_f16_e32 v58, v75, v97
	v_sub_f16_e32 v59, v89, v98
	;; [unrolled: 1-line block ×3, first 2 shown]
	v_fmamk_f16 v57, v70, 0x3b9c, v56
	v_fmac_f16_e32 v56, 0xbb9c, v70
	v_fmac_f16_e32 v50, -0.5, v73
	v_fma_f16 v15, v92, v74, -v15
	v_add_f16_e32 v74, v58, v59
	v_fmac_f16_e32 v57, 0x38b4, v72
	v_fmac_f16_e32 v56, 0xb8b4, v72
	v_fmamk_f16 v59, v72, 0xbb9c, v50
	v_fmac_f16_e32 v50, 0x3b9c, v72
	v_add_f16_e32 v72, v100, v101
	v_add_f16_e32 v58, v71, v98
	v_sub_f16_e32 v71, v97, v75
	v_sub_f16_e32 v73, v98, v89
	;; [unrolled: 1-line block ×3, first 2 shown]
	v_fma_f16 v72, -0.5, v72, v7
	v_fmac_f16_e32 v52, 0x34f2, v55
	v_fmac_f16_e32 v51, 0x34f2, v55
	;; [unrolled: 1-line block ×4, first 2 shown]
	v_add_f16_e32 v69, v54, v96
	ds_read_u16 v54, v40
	ds_read_u16 v55, v39
	;; [unrolled: 1-line block ×3, first 2 shown]
	v_fmac_f16_e32 v57, 0x34f2, v74
	v_fmac_f16_e32 v56, 0x34f2, v74
	v_add_f16_e32 v71, v71, v73
	v_fmac_f16_e32 v59, 0x38b4, v70
	v_sub_f16_e32 v73, v99, v100
	v_sub_f16_e32 v74, v102, v101
	v_fmac_f16_e32 v50, 0xb8b4, v70
	v_add_f16_e32 v70, v99, v102
	v_fmamk_f16 v77, v75, 0xbb9c, v72
	v_sub_f16_e32 v78, v84, v103
	v_fmac_f16_e32 v72, 0x3b9c, v75
	v_add_f16_e32 v73, v73, v74
	v_add_f16_e32 v74, v7, v99
	v_fmac_f16_e32 v7, -0.5, v70
	v_fmac_f16_e32 v77, 0xb8b4, v78
	v_fmac_f16_e32 v72, 0x38b4, v78
	v_sub_f16_e32 v70, v100, v99
	v_sub_f16_e32 v79, v101, v102
	v_fmamk_f16 v80, v78, 0x3b9c, v7
	v_fmac_f16_e32 v7, 0xbb9c, v78
	v_add_f16_e32 v74, v74, v100
	v_fmac_f16_e32 v77, 0x34f2, v73
	v_fmac_f16_e32 v72, 0x34f2, v73
	v_add_f16_e32 v73, v84, v103
	v_add_f16_e32 v70, v70, v79
	v_fmac_f16_e32 v80, 0xb8b4, v75
	v_fmac_f16_e32 v7, 0x38b4, v75
	;; [unrolled: 1-line block ×4, first 2 shown]
	v_add_f16_e32 v71, v74, v101
	v_sub_f16_e32 v74, v99, v102
	v_sub_f16_e32 v75, v76, v84
	;; [unrolled: 1-line block ×3, first 2 shown]
	s_waitcnt lgkmcnt(2)
	v_fma_f16 v73, -0.5, v73, v54
	v_add_f16_e32 v81, v76, v90
	v_fmac_f16_e32 v80, 0x34f2, v70
	v_fmac_f16_e32 v7, 0x34f2, v70
	v_add_f16_e32 v70, v71, v102
	v_add_f16_e32 v71, v54, v76
	v_sub_f16_e32 v79, v100, v101
	v_add_f16_e32 v75, v75, v78
	v_fmamk_f16 v78, v74, 0x3b9c, v73
	v_fmac_f16_e32 v73, 0xbb9c, v74
	v_fmac_f16_e32 v54, -0.5, v81
	v_sub_f16_e32 v76, v84, v76
	v_sub_f16_e32 v81, v103, v90
	v_fmac_f16_e32 v78, 0x38b4, v79
	v_fmac_f16_e32 v73, 0xb8b4, v79
	v_fmamk_f16 v82, v79, 0xbb9c, v54
	v_fmac_f16_e32 v54, 0x3b9c, v79
	v_add_f16_e32 v76, v76, v81
	v_fmac_f16_e32 v78, 0x34f2, v75
	v_fmac_f16_e32 v73, 0x34f2, v75
	v_add_f16_e32 v75, v64, v67
	v_fmac_f16_e32 v82, 0x38b4, v74
	v_sub_f16_e32 v79, v66, v64
	v_sub_f16_e32 v81, v68, v67
	v_fmac_f16_e32 v54, 0xb8b4, v74
	v_add_f16_e32 v74, v66, v68
	v_fma_f16 v75, -0.5, v75, v4
	v_sub_f16_e32 v83, v60, v63
	v_add_f16_e32 v79, v79, v81
	v_add_f16_e32 v81, v4, v66
	v_sub_f16_e32 v85, v61, v62
	v_fmac_f16_e32 v4, -0.5, v74
	v_add_f16_e32 v71, v71, v84
	v_fmamk_f16 v84, v83, 0xbb9c, v75
	v_fmac_f16_e32 v75, 0x3b9c, v83
	v_sub_f16_e32 v74, v64, v66
	v_sub_f16_e32 v86, v67, v68
	v_fmamk_f16 v87, v85, 0x3b9c, v4
	v_fmac_f16_e32 v4, 0xbb9c, v85
	v_add_f16_e32 v81, v81, v64
	v_fmac_f16_e32 v84, 0xb8b4, v85
	v_fmac_f16_e32 v75, 0x38b4, v85
	v_add_f16_e32 v74, v74, v86
	v_fmac_f16_e32 v87, 0xb8b4, v83
	v_fmac_f16_e32 v4, 0x38b4, v83
	;; [unrolled: 1-line block ×4, first 2 shown]
	v_add_f16_e32 v76, v81, v67
	v_fmac_f16_e32 v84, 0x34f2, v79
	v_fmac_f16_e32 v75, 0x34f2, v79
	;; [unrolled: 1-line block ×4, first 2 shown]
	v_add_f16_e32 v74, v76, v68
	s_waitcnt lgkmcnt(1)
	v_add_f16_e32 v76, v55, v60
	v_add_f16_e32 v79, v61, v62
	v_sub_f16_e32 v66, v66, v68
	v_sub_f16_e32 v68, v60, v61
	;; [unrolled: 1-line block ×3, first 2 shown]
	v_add_f16_e32 v76, v76, v61
	v_fma_f16 v79, -0.5, v79, v55
	v_sub_f16_e32 v64, v64, v67
	v_add_f16_e32 v67, v60, v63
	v_add_f16_e32 v68, v68, v81
	;; [unrolled: 1-line block ×3, first 2 shown]
	v_fmamk_f16 v81, v66, 0x3b9c, v79
	v_fmac_f16_e32 v79, 0xbb9c, v66
	v_fmac_f16_e32 v55, -0.5, v67
	v_sub_f16_e32 v60, v61, v60
	v_sub_f16_e32 v62, v62, v63
	v_add_f16_e32 v61, v76, v63
	v_fmac_f16_e32 v81, 0x38b4, v64
	v_fmac_f16_e32 v79, 0xb8b4, v64
	v_fmamk_f16 v63, v64, 0xbb9c, v55
	v_fmac_f16_e32 v55, 0x3b9c, v64
	v_add_f16_e32 v60, v60, v62
	v_add_f16_e32 v62, v46, v47
	v_fmac_f16_e32 v81, 0x34f2, v68
	v_fmac_f16_e32 v79, 0x34f2, v68
	;; [unrolled: 1-line block ×3, first 2 shown]
	v_sub_f16_e32 v64, v48, v46
	v_sub_f16_e32 v67, v49, v47
	v_fmac_f16_e32 v55, 0xb8b4, v66
	v_add_f16_e32 v66, v48, v49
	v_fma_f16 v62, -0.5, v62, v5
	v_sub_f16_e32 v68, v17, v15
	v_add_f16_e32 v64, v64, v67
	v_add_f16_e32 v67, v5, v48
	v_fmac_f16_e32 v5, -0.5, v66
	v_sub_f16_e32 v66, v18, v14
	v_fmamk_f16 v76, v68, 0xbb9c, v62
	v_fmac_f16_e32 v62, 0x3b9c, v68
	v_sub_f16_e32 v83, v46, v48
	v_sub_f16_e32 v85, v47, v49
	v_fmamk_f16 v86, v66, 0x3b9c, v5
	v_fmac_f16_e32 v76, 0xb8b4, v66
	v_fmac_f16_e32 v5, 0xbb9c, v66
	v_fmac_f16_e32 v62, 0x38b4, v66
	v_add_f16_e32 v67, v67, v46
	v_add_f16_e32 v66, v83, v85
	v_fmac_f16_e32 v86, 0xb8b4, v68
	v_fmac_f16_e32 v5, 0x38b4, v68
	;; [unrolled: 1-line block ×5, first 2 shown]
	v_add_f16_e32 v60, v67, v47
	v_fmac_f16_e32 v62, 0x34f2, v64
	v_add_f16_e32 v64, v18, v14
	v_add_f16_e32 v67, v17, v15
	v_fmac_f16_e32 v86, 0x34f2, v66
	v_fmac_f16_e32 v5, 0x34f2, v66
	v_add_f16_e32 v60, v60, v49
	v_sub_f16_e32 v48, v48, v49
	v_sub_f16_e32 v49, v17, v18
	;; [unrolled: 1-line block ×3, first 2 shown]
	s_waitcnt lgkmcnt(0)
	v_fma_f16 v64, -0.5, v64, v53
	v_add_f16_e32 v68, v53, v17
	v_sub_f16_e32 v46, v46, v47
	v_fmac_f16_e32 v53, -0.5, v67
	v_add_f16_e32 v47, v49, v66
	v_fmamk_f16 v66, v48, 0x3b9c, v64
	v_add_f16_e32 v49, v68, v18
	v_sub_f16_e32 v17, v18, v17
	v_fmac_f16_e32 v64, 0xbb9c, v48
	v_sub_f16_e32 v18, v14, v15
	v_fmamk_f16 v67, v46, 0xbb9c, v53
	v_fmac_f16_e32 v53, 0x3b9c, v46
	s_barrier
	buffer_gl0_inv
	ds_write_b16 v33, v45
	ds_write_b16 v33, v12 offset:250
	ds_write_b16 v33, v16 offset:500
	;; [unrolled: 1-line block ×5, first 2 shown]
	v_lshl_add_u32 v69, v9, 1, 0
	v_fmac_f16_e32 v66, 0x38b4, v46
	v_add_f16_e32 v14, v49, v14
	v_fmac_f16_e32 v64, 0xb8b4, v46
	v_add_f16_e32 v17, v17, v18
	v_fmac_f16_e32 v67, 0x38b4, v48
	v_fmac_f16_e32 v53, 0xb8b4, v48
	ds_write_b16 v33, v52 offset:1500
	ds_write_b16 v33, v65 offset:1750
	;; [unrolled: 1-line block ×5, first 2 shown]
	v_lshl_add_u32 v65, v10, 1, 0
	v_add_f16_e32 v68, v14, v15
	v_fmac_f16_e32 v66, 0x34f2, v47
	v_fmac_f16_e32 v64, 0x34f2, v47
	;; [unrolled: 1-line block ×4, first 2 shown]
	ds_write_b16 v69, v77 offset:2750
	ds_write_b16 v69, v80 offset:3000
	;; [unrolled: 1-line block ×14, first 2 shown]
	s_waitcnt lgkmcnt(0)
	s_barrier
	buffer_gl0_inv
	ds_read_u16 v13, v40
	ds_read_u16 v18, v39
	;; [unrolled: 1-line block ×3, first 2 shown]
	ds_read_u16 v5, v33 offset:1250
	ds_read_u16 v14, v33 offset:1500
	;; [unrolled: 1-line block ×6, first 2 shown]
	ds_read_u16 v39, v41
	ds_read_u16 v6, v33 offset:5000
	ds_read_u16 v15, v33 offset:5250
	;; [unrolled: 1-line block ×13, first 2 shown]
	ds_read_u16 v12, v38
	ds_read_u16 v38, v33 offset:6000
	v_add_f16_e32 v71, v71, v103
	v_add_f16_e32 v58, v58, v89
	s_waitcnt lgkmcnt(0)
	s_barrier
	buffer_gl0_inv
	v_add_f16_e32 v71, v71, v90
	ds_write_b16 v33, v43
	ds_write_b16 v33, v42 offset:250
	ds_write_b16 v33, v44 offset:500
	;; [unrolled: 1-line block ×24, first 2 shown]
	s_waitcnt lgkmcnt(0)
	s_barrier
	buffer_gl0_inv
	s_and_saveexec_b32 s0, vcc_lo
	s_cbranch_execz .LBB0_15
; %bb.14:
	v_lshlrev_b32_e32 v0, 2, v28
	v_add_co_u32 v2, vcc_lo, 0x800, v2
	v_add_co_ci_u32_e32 v3, vcc_lo, 0, v3, vcc_lo
	v_lshlrev_b64 v[42:43], 2, v[0:1]
	v_lshlrev_b32_e32 v0, 2, v27
	v_mul_lo_u32 v11, s5, v22
	global_load_dwordx4 v[53:56], v[2:3], off offset:432
	v_mul_lo_u32 v19, s4, v23
	v_lshlrev_b64 v[20:21], 2, v[20:21]
	v_add_co_u32 v2, vcc_lo, s12, v42
	v_add_co_ci_u32_e32 v3, vcc_lo, s13, v43, vcc_lo
	v_lshlrev_b64 v[27:28], 2, v[0:1]
	v_add_co_u32 v2, vcc_lo, 0x800, v2
	v_add_co_ci_u32_e32 v3, vcc_lo, 0, v3, vcc_lo
	v_add_co_u32 v0, vcc_lo, s12, v27
	global_load_dwordx4 v[57:60], v[2:3], off offset:432
	v_add_co_ci_u32_e32 v3, vcc_lo, s13, v28, vcc_lo
	v_add_co_u32 v2, vcc_lo, 0x800, v0
	v_lshlrev_b32_e32 v0, 2, v26
	v_add_co_ci_u32_e32 v3, vcc_lo, 0, v3, vcc_lo
	global_load_dwordx4 v[61:64], v[2:3], off offset:432
	v_lshlrev_b64 v[2:3], 2, v[0:1]
	v_add_co_u32 v0, vcc_lo, s12, v2
	v_add_co_ci_u32_e32 v3, vcc_lo, s13, v3, vcc_lo
	v_add_co_u32 v2, vcc_lo, 0x800, v0
	v_lshlrev_b32_e32 v0, 2, v25
	v_add_co_ci_u32_e32 v3, vcc_lo, 0, v3, vcc_lo
	v_lshlrev_b64 v[0:1], 2, v[0:1]
	global_load_dwordx4 v[65:68], v[2:3], off offset:432
	v_add_co_u32 v0, vcc_lo, s12, v0
	v_add_co_ci_u32_e32 v1, vcc_lo, s13, v1, vcc_lo
	v_add_co_u32 v0, vcc_lo, 0x800, v0
	v_add_co_ci_u32_e32 v1, vcc_lo, 0, v1, vcc_lo
	global_load_dwordx4 v[25:28], v[0:1], off offset:432
	v_sub_nc_u32_e32 v0, 0, v36
	v_sub_nc_u32_e32 v1, 0, v35
	;; [unrolled: 1-line block ×4, first 2 shown]
	v_mad_u64_u32 v[36:37], null, s4, v22, 0
	ds_read_u16 v34, v33 offset:2750
	ds_read_u16 v22, v33 offset:2500
	ds_read_u16 v23, v33 offset:2250
	ds_read_u16 v42, v33 offset:2000
	ds_read_u16 v43, v33 offset:1750
	ds_read_u16 v44, v33 offset:1500
	ds_read_u16 v35, v33 offset:1250
	ds_read_u16 v50, v33 offset:4750
	ds_read_u16 v69, v33 offset:4500
	ds_read_u16 v70, v33 offset:4250
	ds_read_u16 v71, v33 offset:4000
	ds_read_u16 v72, v33 offset:3750
	ds_read_u16 v73, v33 offset:6000
	ds_read_u16 v74, v33 offset:5750
	ds_read_u16 v75, v33 offset:5500
	ds_read_u16 v76, v33 offset:5250
	ds_read_u16 v77, v33 offset:5000
	ds_read_u16 v78, v33 offset:3500
	ds_read_u16 v79, v33 offset:3250
	ds_read_u16 v80, v33 offset:3000
	ds_read_u16 v81, v33
	v_add_nc_u32_e32 v2, v31, v2
	v_add_nc_u32_e32 v3, v32, v3
	;; [unrolled: 1-line block ×4, first 2 shown]
	v_add3_u32 v37, v37, v19, v11
	ds_read_u16 v3, v3
	ds_read_u16 v11, v2
	;; [unrolled: 1-line block ×4, first 2 shown]
	v_lshlrev_b64 v[36:37], 2, v[36:37]
	s_waitcnt vmcnt(4)
	v_mul_f16_sdwa v0, v5, v53 dst_sel:DWORD dst_unused:UNUSED_PAD src0_sel:DWORD src1_sel:WORD_1
	v_mul_f16_sdwa v1, v6, v56 dst_sel:DWORD dst_unused:UNUSED_PAD src0_sel:DWORD src1_sel:WORD_1
	;; [unrolled: 1-line block ×3, first 2 shown]
	s_waitcnt lgkmcnt(23)
	v_mul_f16_sdwa v83, v22, v54 dst_sel:DWORD dst_unused:UNUSED_PAD src0_sel:DWORD src1_sel:WORD_1
	s_waitcnt lgkmcnt(13)
	v_mul_f16_sdwa v84, v72, v55 dst_sel:DWORD dst_unused:UNUSED_PAD src0_sel:DWORD src1_sel:WORD_1
	v_fma_f16 v85, v53, v35, -v0
	s_waitcnt lgkmcnt(8)
	v_fma_f16 v86, v56, v77, -v1
	v_mul_f16_sdwa v0, v52, v55 dst_sel:DWORD dst_unused:UNUSED_PAD src0_sel:DWORD src1_sel:WORD_1
	v_mul_f16_sdwa v87, v35, v53 dst_sel:DWORD dst_unused:UNUSED_PAD src0_sel:DWORD src1_sel:WORD_1
	v_fmac_f16_e32 v83, v51, v54
	v_fmac_f16_e32 v84, v52, v55
	v_add_f16_e32 v1, v85, v86
	v_fma_f16 v52, v54, v22, -v2
	v_fma_f16 v54, v55, v72, -v0
	v_mul_f16_sdwa v51, v77, v56 dst_sel:DWORD dst_unused:UNUSED_PAD src0_sel:DWORD src1_sel:WORD_1
	s_waitcnt vmcnt(3)
	v_mul_f16_sdwa v0, v49, v58 dst_sel:DWORD dst_unused:UNUSED_PAD src0_sel:DWORD src1_sel:WORD_1
	s_waitcnt lgkmcnt(4)
	v_fma_f16 v35, -0.5, v1, v81
	v_mul_f16_sdwa v1, v47, v57 dst_sel:DWORD dst_unused:UNUSED_PAD src0_sel:DWORD src1_sel:WORD_1
	v_mul_f16_sdwa v2, v48, v59 dst_sel:DWORD dst_unused:UNUSED_PAD src0_sel:DWORD src1_sel:WORD_1
	;; [unrolled: 1-line block ×7, first 2 shown]
	v_fma_f16 v33, v58, v78, -v0
	v_fma_f16 v0, v57, v23, -v1
	;; [unrolled: 1-line block ×4, first 2 shown]
	v_fmac_f16_e32 v22, v49, v58
	v_fmac_f16_e32 v30, v48, v59
	;; [unrolled: 1-line block ×4, first 2 shown]
	s_waitcnt vmcnt(2)
	v_mul_f16_sdwa v1, v45, v62 dst_sel:DWORD dst_unused:UNUSED_PAD src0_sel:DWORD src1_sel:WORD_1
	v_mul_f16_sdwa v2, v40, v61 dst_sel:DWORD dst_unused:UNUSED_PAD src0_sel:DWORD src1_sel:WORD_1
	;; [unrolled: 1-line block ×8, first 2 shown]
	v_sub_f16_e32 v58, v33, v0
	v_sub_f16_e32 v59, v23, v50
	v_add_f16_e32 v72, v0, v50
	v_sub_f16_e32 v73, v31, v32
	v_sub_f16_e32 v77, v0, v33
	;; [unrolled: 1-line block ×3, first 2 shown]
	v_add_f16_e32 v88, v33, v23
	s_waitcnt lgkmcnt(3)
	v_add_f16_e32 v89, v0, v3
	v_sub_f16_e32 v90, v22, v31
	v_sub_f16_e32 v91, v30, v32
	v_add_f16_e32 v93, v31, v32
	v_sub_f16_e32 v95, v31, v22
	v_sub_f16_e32 v96, v32, v30
	v_add_f16_e32 v97, v22, v30
	v_add_f16_e32 v31, v39, v31
	v_fma_f16 v79, v62, v79, -v1
	v_fma_f16 v42, v61, v42, -v2
	v_fma_f16 v69, v63, v69, -v19
	v_fma_f16 v38, v64, v74, -v38
	v_fmac_f16_e32 v47, v45, v62
	v_fmac_f16_e32 v48, v46, v63
	;; [unrolled: 1-line block ×4, first 2 shown]
	s_waitcnt vmcnt(1)
	v_mul_f16_sdwa v19, v8, v66 dst_sel:DWORD dst_unused:UNUSED_PAD src0_sel:DWORD src1_sel:WORD_1
	v_mul_f16_sdwa v40, v7, v65 dst_sel:DWORD dst_unused:UNUSED_PAD src0_sel:DWORD src1_sel:WORD_1
	;; [unrolled: 1-line block ×7, first 2 shown]
	v_sub_f16_e32 v60, v22, v30
	v_sub_f16_e32 v92, v0, v50
	;; [unrolled: 1-line block ×3, first 2 shown]
	v_mul_f16_sdwa v61, v70, v67 dst_sel:DWORD dst_unused:UNUSED_PAD src0_sel:DWORD src1_sel:WORD_1
	v_add_f16_e32 v58, v58, v59
	v_fma_f16 v0, -0.5, v72, v3
	v_add_f16_e32 v59, v77, v78
	v_fma_f16 v2, -0.5, v88, v3
	v_add_f16_e32 v33, v33, v89
	v_add_f16_e32 v64, v90, v91
	v_fma_f16 v1, -0.5, v93, v39
	v_add_f16_e32 v72, v95, v96
	v_fma_f16 v3, -0.5, v97, v39
	v_add_f16_e32 v22, v22, v31
	v_sub_f16_e32 v31, v79, v42
	v_sub_f16_e32 v39, v69, v38
	v_add_f16_e32 v77, v42, v38
	v_sub_f16_e32 v78, v49, v57
	v_sub_f16_e32 v88, v42, v79
	;; [unrolled: 1-line block ×3, first 2 shown]
	s_waitcnt lgkmcnt(2)
	v_add_f16_e32 v91, v42, v11
	v_sub_f16_e32 v93, v47, v49
	v_add_f16_e32 v96, v49, v57
	v_sub_f16_e32 v98, v49, v47
	v_sub_f16_e32 v99, v57, v48
	v_add_f16_e32 v49, v18, v49
	v_fma_f16 v80, v66, v80, -v19
	v_fma_f16 v40, v65, v43, -v40
	;; [unrolled: 1-line block ×4, first 2 shown]
	v_fmac_f16_e32 v62, v7, v65
	v_fmac_f16_e32 v63, v9, v68
	s_waitcnt vmcnt(0)
	v_mul_f16_sdwa v65, v14, v25 dst_sel:DWORD dst_unused:UNUSED_PAD src0_sel:DWORD src1_sel:WORD_1
	v_fmac_f16_e32 v46, v8, v66
	v_mul_f16_sdwa v45, v16, v26 dst_sel:DWORD dst_unused:UNUSED_PAD src0_sel:DWORD src1_sel:WORD_1
	v_mul_f16_sdwa v66, v17, v27 dst_sel:DWORD dst_unused:UNUSED_PAD src0_sel:DWORD src1_sel:WORD_1
	v_sub_f16_e32 v74, v47, v48
	v_add_f16_e32 v90, v79, v69
	v_sub_f16_e32 v95, v48, v57
	v_add_f16_e32 v100, v47, v48
	v_fmac_f16_e32 v61, v10, v67
	v_mul_f16_sdwa v67, v15, v28 dst_sel:DWORD dst_unused:UNUSED_PAD src0_sel:DWORD src1_sel:WORD_1
	v_mul_f16_sdwa v68, v34, v26 dst_sel:DWORD dst_unused:UNUSED_PAD src0_sel:DWORD src1_sel:WORD_1
	;; [unrolled: 1-line block ×5, first 2 shown]
	v_add_f16_e32 v30, v22, v30
	v_add_f16_e32 v39, v31, v39
	v_fma_f16 v19, -0.5, v77, v11
	v_add_f16_e32 v77, v88, v89
	v_add_f16_e32 v31, v79, v91
	;; [unrolled: 1-line block ×4, first 2 shown]
	v_sub_f16_e32 v49, v80, v40
	v_sub_f16_e32 v89, v41, v43
	v_add_f16_e32 v91, v40, v43
	v_add_f16_e32 v98, v80, v41
	s_waitcnt lgkmcnt(1)
	v_add_f16_e32 v99, v40, v29
	v_add_f16_e32 v103, v62, v63
	v_fma_f16 v44, v25, v44, -v65
	v_fma_f16 v45, v26, v34, -v45
	;; [unrolled: 1-line block ×3, first 2 shown]
	v_sub_f16_e32 v97, v79, v69
	v_add_f16_e32 v33, v23, v33
	v_fma_f16 v23, -0.5, v90, v11
	v_add_f16_e32 v79, v93, v95
	v_fma_f16 v22, -0.5, v96, v18
	v_fma_f16 v18, -0.5, v100, v18
	v_sub_f16_e32 v90, v46, v61
	v_sub_f16_e32 v93, v62, v63
	;; [unrolled: 1-line block ×7, first 2 shown]
	v_add_f16_e32 v34, v46, v61
	v_add_f16_e32 v62, v13, v62
	v_fma_f16 v66, v28, v76, -v67
	v_fmac_f16_e32 v68, v16, v26
	v_fmac_f16_e32 v70, v17, v27
	;; [unrolled: 1-line block ×4, first 2 shown]
	v_add_f16_e32 v14, v30, v32
	v_add_f16_e32 v26, v69, v31
	;; [unrolled: 1-line block ×4, first 2 shown]
	v_fma_f16 v27, -0.5, v91, v29
	v_fma_f16 v30, -0.5, v98, v29
	v_add_f16_e32 v49, v80, v99
	v_fma_f16 v28, -0.5, v103, v13
	s_waitcnt lgkmcnt(0)
	v_add_f16_e32 v91, v44, v82
	v_fmamk_f16 v8, v60, 0x3b9c, v0
	v_fmac_f16_e32 v0, 0xbb9c, v60
	v_fmamk_f16 v10, v94, 0xbb9c, v1
	v_fmac_f16_e32 v1, 0x3b9c, v94
	v_add_f16_e32 v89, v45, v65
	v_sub_f16_e32 v42, v42, v38
	v_sub_f16_e32 v40, v40, v43
	v_add_f16_e32 v11, v50, v33
	v_fmamk_f16 v17, v74, 0x3b9c, v19
	v_fmac_f16_e32 v19, 0xbb9c, v74
	v_fmamk_f16 v25, v97, 0xbb9c, v22
	v_fmac_f16_e32 v22, 0x3b9c, v97
	v_add_f16_e32 v48, v95, v96
	v_fma_f16 v32, -0.5, v34, v13
	v_add_f16_e32 v46, v46, v62
	v_sub_f16_e32 v62, v45, v44
	v_sub_f16_e32 v67, v65, v66
	v_sub_f16_e32 v76, v44, v45
	v_sub_f16_e32 v96, v45, v65
	v_add_f16_e32 v13, v38, v26
	v_fmamk_f16 v33, v90, 0x3b9c, v27
	v_fmac_f16_e32 v27, 0xbb9c, v90
	v_fmamk_f16 v29, v93, 0xbb9c, v30
	v_fmac_f16_e32 v30, 0x3b9c, v93
	v_add_f16_e32 v38, v41, v49
	v_fmamk_f16 v34, v104, 0xbb9c, v28
	v_fmac_f16_e32 v28, 0x3b9c, v104
	v_add_f16_e32 v45, v45, v91
	v_fmamk_f16 v7, v73, 0xbb9c, v2
	v_fmac_f16_e32 v2, 0x3b9c, v73
	v_fmamk_f16 v9, v92, 0x3b9c, v3
	v_fmac_f16_e32 v3, 0xbb9c, v92
	v_fmac_f16_e32 v8, 0xb8b4, v73
	;; [unrolled: 1-line block ×5, first 2 shown]
	v_sub_f16_e32 v73, v75, v101
	v_sub_f16_e32 v92, v68, v75
	v_add_f16_e32 v95, v75, v101
	v_sub_f16_e32 v98, v75, v68
	v_add_f16_e32 v75, v12, v75
	v_add_f16_e32 v26, v31, v57
	v_fma_f16 v57, -0.5, v89, v82
	v_sub_f16_e32 v55, v83, v84
	v_sub_f16_e32 v102, v61, v63
	v_fmamk_f16 v16, v42, 0x3b9c, v18
	v_fmac_f16_e32 v18, 0xbb9c, v42
	v_fmac_f16_e32 v17, 0xb8b4, v78
	;; [unrolled: 1-line block ×5, first 2 shown]
	v_fmamk_f16 v31, v40, 0x3b9c, v32
	v_fmac_f16_e32 v32, 0xbb9c, v40
	v_add_f16_e32 v42, v62, v67
	v_fmac_f16_e32 v33, 0xb8b4, v93
	v_fmac_f16_e32 v27, 0x38b4, v93
	;; [unrolled: 1-line block ×4, first 2 shown]
	v_add_f16_e32 v62, v43, v38
	v_fmac_f16_e32 v34, 0x38b4, v40
	v_fmac_f16_e32 v28, 0xb8b4, v40
	v_add_f16_e32 v38, v65, v45
	v_fmac_f16_e32 v87, v5, v53
	v_fmac_f16_e32 v51, v6, v56
	v_add_f16_e32 v40, v52, v54
	v_sub_f16_e32 v69, v68, v70
	v_sub_f16_e32 v80, v66, v65
	v_fmamk_f16 v67, v73, 0xbb9c, v57
	v_fmac_f16_e32 v57, 0x3b9c, v73
	v_add_f16_e32 v5, v68, v75
	v_add_f16_e32 v50, v100, v102
	v_fmac_f16_e32 v17, 0x34f2, v39
	v_fmac_f16_e32 v19, 0x34f2, v39
	;; [unrolled: 1-line block ×6, first 2 shown]
	v_add_f16_e32 v47, v66, v38
	v_sub_f16_e32 v6, v52, v85
	v_sub_f16_e32 v38, v54, v86
	v_fmamk_f16 v48, v55, 0x3b9c, v35
	v_sub_f16_e32 v39, v87, v51
	v_fma_f16 v43, -0.5, v40, v81
	v_fmac_f16_e32 v35, 0xbb9c, v55
	v_add_f16_e32 v71, v44, v66
	v_add_f16_e32 v49, v76, v80
	v_fmac_f16_e32 v67, 0xb8b4, v69
	v_fmac_f16_e32 v57, 0x38b4, v69
	v_add_f16_e32 v5, v5, v70
	v_fmac_f16_e32 v34, 0x34f2, v50
	v_fmac_f16_e32 v28, 0x34f2, v50
	v_add_f16_e32 v6, v6, v38
	v_fmac_f16_e32 v48, 0xb8b4, v39
	v_fmamk_f16 v50, v39, 0xbb9c, v43
	v_fmac_f16_e32 v35, 0x38b4, v39
	v_fmac_f16_e32 v43, 0x3b9c, v39
	v_add_f16_e32 v39, v85, v81
	v_fmac_f16_e32 v7, 0xb8b4, v60
	v_fmac_f16_e32 v2, 0x38b4, v60
	v_add_f16_e32 v41, v46, v61
	v_fma_f16 v46, -0.5, v71, v82
	v_fmac_f16_e32 v67, 0x34f2, v49
	v_fmac_f16_e32 v57, 0x34f2, v49
	v_add_f16_e32 v49, v5, v101
	v_sub_f16_e32 v5, v85, v52
	v_sub_f16_e32 v38, v86, v54
	v_fmac_f16_e32 v48, 0x34f2, v6
	v_fmac_f16_e32 v35, 0x34f2, v6
	v_add_f16_e32 v6, v52, v39
	v_mul_hi_u32 v39, 0xd1b71759, v24
	v_add_f16_e32 v100, v68, v70
	v_fmac_f16_e32 v7, 0x34f2, v59
	v_fmac_f16_e32 v2, 0x34f2, v59
	;; [unrolled: 1-line block ×4, first 2 shown]
	v_fma_f16 v59, -0.5, v95, v12
	v_fmamk_f16 v64, v69, 0x3b9c, v46
	v_fmac_f16_e32 v46, 0xbb9c, v69
	v_add_f16_e32 v5, v5, v38
	v_fmac_f16_e32 v50, 0xb8b4, v55
	v_fmac_f16_e32 v43, 0x38b4, v55
	v_sub_f16_e32 v44, v44, v66
	v_fma_f16 v12, -0.5, v100, v12
	v_fmamk_f16 v45, v96, 0xbb9c, v59
	v_fmac_f16_e32 v59, 0x3b9c, v96
	v_fmac_f16_e32 v64, 0xb8b4, v73
	;; [unrolled: 1-line block ×3, first 2 shown]
	v_add_f16_e32 v38, v87, v51
	v_fmac_f16_e32 v50, 0x34f2, v5
	v_fmac_f16_e32 v43, 0x34f2, v5
	v_add_f16_e32 v5, v54, v6
	v_lshrrev_b32_e32 v39, 9, v39
	v_fmamk_f16 v65, v44, 0x3b9c, v12
	v_fmac_f16_e32 v12, 0xbb9c, v44
	v_fmac_f16_e32 v45, 0x38b4, v44
	;; [unrolled: 1-line block ×5, first 2 shown]
	v_fma_f16 v53, -0.5, v38, v4
	v_sub_f16_e32 v6, v52, v54
	v_sub_f16_e32 v38, v83, v87
	;; [unrolled: 1-line block ×3, first 2 shown]
	v_add_f16_e32 v42, v83, v84
	v_add_f16_e32 v44, v86, v5
	v_mul_u32_u24_e32 v5, 0x271, v39
	v_sub_f16_e32 v106, v63, v61
	v_fmac_f16_e32 v9, 0x38b4, v94
	v_fmac_f16_e32 v3, 0xb8b4, v94
	v_sub_f16_e32 v94, v70, v101
	v_add_f16_e32 v63, v41, v63
	v_sub_f16_e32 v41, v85, v86
	v_fmamk_f16 v52, v6, 0xbb9c, v53
	v_add_f16_e32 v40, v38, v40
	v_fma_f16 v54, -0.5, v42, v4
	v_fmac_f16_e32 v53, 0x3b9c, v6
	v_sub_f16_e32 v38, v87, v83
	v_sub_nc_u32_e32 v42, v24, v5
	v_sub_f16_e32 v39, v51, v84
	v_add_f16_e32 v56, v4, v87
	v_fmac_f16_e32 v8, 0x34f2, v58
	v_fmac_f16_e32 v0, 0x34f2, v58
	v_add_f16_e32 v58, v92, v94
	v_fmac_f16_e32 v52, 0x38b4, v41
	v_fmamk_f16 v55, v41, 0x3b9c, v54
	v_fmac_f16_e32 v53, 0xb8b4, v41
	v_fmac_f16_e32 v54, 0xbb9c, v41
	v_add_f16_e32 v41, v38, v39
	v_add_f16_e32 v38, v83, v56
	v_add_nc_u32_e32 v56, 0x271, v42
	v_mad_u64_u32 v[4:5], null, s2, v42, 0
	v_fmac_f16_e32 v45, 0x34f2, v58
	v_fmac_f16_e32 v59, 0x34f2, v58
	v_add_f16_e32 v58, v38, v84
	v_mad_u64_u32 v[38:39], null, s2, v56, 0
	v_fmac_f16_e32 v55, 0x38b4, v6
	v_fmac_f16_e32 v54, 0xb8b4, v6
	v_mad_u64_u32 v[5:6], null, s3, v42, v[5:6]
	v_fmac_f16_e32 v52, 0x34f2, v40
	v_fmac_f16_e32 v53, 0x34f2, v40
	v_mov_b32_e32 v6, v39
	v_fmac_f16_e32 v55, 0x34f2, v41
	v_fmac_f16_e32 v54, 0x34f2, v41
	v_add_f16_e32 v41, v58, v51
	v_add_f16_e32 v60, v105, v106
	v_mad_u64_u32 v[39:40], null, s3, v56, v[6:7]
	v_add_co_u32 v6, vcc_lo, s10, v36
	v_add_co_ci_u32_e32 v36, vcc_lo, s11, v37, vcc_lo
	v_add_nc_u32_e32 v40, 0x4e2, v42
	v_add_co_u32 v51, vcc_lo, v6, v20
	v_add_co_ci_u32_e32 v56, vcc_lo, v36, v21, vcc_lo
	v_mad_u64_u32 v[20:21], null, s2, v40, 0
	v_fmac_f16_e32 v31, 0x38b4, v104
	v_fmac_f16_e32 v32, 0xb8b4, v104
	v_add_nc_u32_e32 v58, 0x7d, v24
	v_sub_f16_e32 v99, v101, v70
	v_fmac_f16_e32 v65, 0x38b4, v96
	v_fmac_f16_e32 v31, 0x34f2, v60
	;; [unrolled: 1-line block ×3, first 2 shown]
	v_pack_b32_f16 v60, v41, v44
	v_add_nc_u32_e32 v44, 0x753, v42
	v_mov_b32_e32 v6, v21
	v_mul_hi_u32 v21, 0xd1b71759, v58
	v_add_f16_e32 v61, v98, v99
	v_fmac_f16_e32 v12, 0xb8b4, v96
	v_lshlrev_b64 v[36:37], 2, v[38:39]
	v_mad_u64_u32 v[38:39], null, s2, v44, 0
	v_lshlrev_b64 v[4:5], 2, v[4:5]
	v_mad_u64_u32 v[40:41], null, s3, v40, v[6:7]
	v_lshrrev_b32_e32 v66, 9, v21
	v_fmac_f16_e32 v65, 0x34f2, v61
	v_fmac_f16_e32 v12, 0x34f2, v61
	v_add_nc_u32_e32 v61, 0x9c4, v42
	v_add_co_u32 v4, vcc_lo, v51, v4
	v_mov_b32_e32 v6, v39
	v_mul_u32_u24_e32 v39, 0x271, v66
	v_add_co_ci_u32_e32 v5, vcc_lo, v56, v5, vcc_lo
	v_mad_u64_u32 v[41:42], null, s2, v61, 0
	v_add_co_u32 v36, vcc_lo, v51, v36
	v_mov_b32_e32 v21, v40
	v_add_co_ci_u32_e32 v37, vcc_lo, v56, v37, vcc_lo
	v_pack_b32_f16 v54, v54, v43
	v_sub_nc_u32_e32 v39, v58, v39
	v_mad_u64_u32 v[43:44], null, s3, v44, v[6:7]
	global_store_dword v[4:5], v60, off
	global_store_dword v[36:37], v54, off
	v_lshlrev_b64 v[5:6], 2, v[20:21]
	v_mov_b32_e32 v4, v42
	v_mad_u32_u24 v54, 0xc35, v66, v39
	v_pack_b32_f16 v35, v53, v35
	v_pack_b32_f16 v48, v52, v48
	v_mov_b32_e32 v39, v43
	v_mad_u64_u32 v[20:21], null, s3, v61, v[4:5]
	v_mad_u64_u32 v[36:37], null, s2, v54, 0
	v_add_co_u32 v4, vcc_lo, v51, v5
	v_add_co_ci_u32_e32 v5, vcc_lo, v56, v6, vcc_lo
	v_add_nc_u32_e32 v44, 0x271, v54
	v_mov_b32_e32 v42, v20
	v_mov_b32_e32 v6, v37
	v_lshlrev_b64 v[38:39], 2, v[38:39]
	v_pack_b32_f16 v12, v12, v57
	v_mad_u64_u32 v[20:21], null, s2, v44, 0
	v_lshlrev_b64 v[40:41], 2, v[41:42]
	v_mad_u64_u32 v[42:43], null, s3, v54, v[6:7]
	v_add_co_u32 v38, vcc_lo, v51, v38
	v_add_co_ci_u32_e32 v39, vcc_lo, v56, v39, vcc_lo
	v_mov_b32_e32 v6, v21
	global_store_dword v[4:5], v35, off
	global_store_dword v[38:39], v48, off
	v_mov_b32_e32 v37, v42
	v_add_nc_u32_e32 v39, 0x4e2, v54
	v_mad_u64_u32 v[43:44], null, s3, v44, v[6:7]
	v_add_co_u32 v40, vcc_lo, v51, v40
	v_lshlrev_b64 v[4:5], 2, v[36:37]
	v_mad_u64_u32 v[35:36], null, s2, v39, 0
	v_add_nc_u32_e32 v42, 0x753, v54
	v_add_co_ci_u32_e32 v41, vcc_lo, v56, v41, vcc_lo
	v_pack_b32_f16 v6, v55, v50
	v_pack_b32_f16 v44, v49, v47
	v_mad_u64_u32 v[37:38], null, s2, v42, 0
	v_add_nc_u32_e32 v47, 0xfa, v24
	global_store_dword v[40:41], v6, off
	v_mov_b32_e32 v21, v43
	v_mov_b32_e32 v6, v36
	v_add_nc_u32_e32 v48, 0x9c4, v54
	v_mul_hi_u32 v36, 0xd1b71759, v47
	v_add_co_u32 v4, vcc_lo, v51, v4
	v_lshlrev_b64 v[20:21], 2, v[20:21]
	v_mad_u64_u32 v[39:40], null, s3, v39, v[6:7]
	v_mov_b32_e32 v6, v38
	v_add_co_ci_u32_e32 v5, vcc_lo, v56, v5, vcc_lo
	v_add_co_u32 v20, vcc_lo, v51, v20
	v_mad_u64_u32 v[40:41], null, s2, v48, 0
	v_mad_u64_u32 v[42:43], null, s3, v42, v[6:7]
	v_lshrrev_b32_e32 v43, 9, v36
	v_add_co_ci_u32_e32 v21, vcc_lo, v56, v21, vcc_lo
	v_mov_b32_e32 v36, v39
	global_store_dword v[4:5], v44, off
	global_store_dword v[20:21], v12, off
	v_mul_u32_u24_e32 v12, 0x271, v43
	v_mov_b32_e32 v4, v41
	v_lshlrev_b64 v[5:6], 2, v[35:36]
	v_mov_b32_e32 v38, v42
	v_pack_b32_f16 v46, v59, v46
	v_sub_nc_u32_e32 v12, v47, v12
	v_pack_b32_f16 v47, v45, v64
	v_pack_b32_f16 v30, v32, v30
	v_mad_u64_u32 v[20:21], null, s3, v48, v[4:5]
	v_mad_u32_u24 v12, 0xc35, v43, v12
	v_add_co_u32 v4, vcc_lo, v51, v5
	v_add_co_ci_u32_e32 v5, vcc_lo, v56, v6, vcc_lo
	v_add_nc_u32_e32 v44, 0x271, v12
	v_mov_b32_e32 v41, v20
	v_mad_u64_u32 v[20:21], null, s2, v12, 0
	v_lshlrev_b64 v[35:36], 2, v[37:38]
	v_add_nc_u32_e32 v48, 0x4e2, v12
	v_lshlrev_b64 v[37:38], 2, v[40:41]
	v_mad_u64_u32 v[39:40], null, s2, v44, 0
	global_store_dword v[4:5], v46, off
	v_mov_b32_e32 v6, v21
	v_add_co_u32 v35, vcc_lo, v51, v35
	v_add_co_ci_u32_e32 v36, vcc_lo, v56, v36, vcc_lo
	v_mad_u64_u32 v[41:42], null, s3, v12, v[6:7]
	v_mad_u64_u32 v[42:43], null, s2, v48, 0
	v_mov_b32_e32 v6, v40
	global_store_dword v[35:36], v47, off
	v_add_co_u32 v37, vcc_lo, v51, v37
	v_mov_b32_e32 v21, v41
	v_add_nc_u32_e32 v41, 0x177, v24
	v_mad_u64_u32 v[44:45], null, s3, v44, v[6:7]
	v_mov_b32_e32 v4, v43
	v_lshlrev_b64 v[5:6], 2, v[20:21]
	v_mul_hi_u32 v35, 0xd1b71759, v41
	v_add_co_ci_u32_e32 v38, vcc_lo, v56, v38, vcc_lo
	v_pack_b32_f16 v40, v65, v67
	v_add_nc_u32_e32 v45, 0x753, v12
	v_mad_u64_u32 v[20:21], null, s3, v48, v[4:5]
	v_add_co_u32 v4, vcc_lo, v51, v5
	global_store_dword v[37:38], v40, off
	v_mov_b32_e32 v40, v44
	v_lshrrev_b32_e32 v44, 9, v35
	v_add_co_ci_u32_e32 v5, vcc_lo, v56, v6, vcc_lo
	v_mov_b32_e32 v43, v20
	v_mad_u64_u32 v[20:21], null, s2, v45, 0
	v_add_nc_u32_e32 v12, 0x9c4, v12
	v_mul_u32_u24_e32 v6, 0x271, v44
	v_lshlrev_b64 v[35:36], 2, v[39:40]
	v_lshlrev_b64 v[39:40], 2, v[42:43]
	v_pack_b32_f16 v46, v63, v62
	v_mad_u64_u32 v[37:38], null, s2, v12, 0
	v_sub_nc_u32_e32 v41, v41, v6
	v_mov_b32_e32 v6, v21
	v_add_co_u32 v35, vcc_lo, v51, v35
	v_add_co_ci_u32_e32 v36, vcc_lo, v56, v36, vcc_lo
	v_mad_u32_u24 v47, 0xc35, v44, v41
	v_mad_u64_u32 v[41:42], null, s3, v45, v[6:7]
	v_mov_b32_e32 v6, v38
	v_add_co_u32 v38, vcc_lo, v51, v39
	v_mad_u64_u32 v[42:43], null, s2, v47, 0
	v_add_co_ci_u32_e32 v39, vcc_lo, v56, v40, vcc_lo
	v_mad_u64_u32 v[44:45], null, s3, v12, v[6:7]
	v_pack_b32_f16 v6, v28, v27
	v_mov_b32_e32 v21, v41
	global_store_dword v[4:5], v46, off
	global_store_dword v[35:36], v30, off
	v_mov_b32_e32 v4, v43
	v_add_nc_u32_e32 v12, 0x271, v47
	global_store_dword v[38:39], v6, off
	v_lshlrev_b64 v[5:6], 2, v[20:21]
	v_mov_b32_e32 v38, v44
	v_pack_b32_f16 v36, v34, v33
	v_mad_u64_u32 v[32:33], null, s2, v12, 0
	v_pack_b32_f16 v31, v31, v29
	v_mad_u64_u32 v[20:21], null, s3, v47, v[4:5]
	v_lshlrev_b64 v[27:28], 2, v[37:38]
	v_add_nc_u32_e32 v37, 0x4e2, v47
	v_add_co_u32 v4, vcc_lo, v51, v5
	v_add_co_ci_u32_e32 v5, vcc_lo, v56, v6, vcc_lo
	v_mov_b32_e32 v43, v20
	v_mad_u64_u32 v[29:30], null, s2, v37, 0
	v_add_co_u32 v20, vcc_lo, v51, v27
	v_mov_b32_e32 v6, v33
	v_add_nc_u32_e32 v38, 0x753, v47
	v_add_co_ci_u32_e32 v21, vcc_lo, v56, v28, vcc_lo
	v_lshlrev_b64 v[27:28], 2, v[42:43]
	v_mad_u64_u32 v[33:34], null, s3, v12, v[6:7]
	v_mov_b32_e32 v6, v30
	v_mad_u64_u32 v[34:35], null, s2, v38, 0
	v_add_co_u32 v27, vcc_lo, v51, v27
	v_add_co_ci_u32_e32 v28, vcc_lo, v56, v28, vcc_lo
	v_pack_b32_f16 v26, v26, v13
	v_mad_u64_u32 v[12:13], null, s3, v37, v[6:7]
	global_store_dword v[4:5], v36, off
	global_store_dword v[20:21], v31, off
	;; [unrolled: 1-line block ×3, first 2 shown]
	v_lshlrev_b64 v[5:6], 2, v[32:33]
	v_mov_b32_e32 v4, v35
	v_add_nc_u32_e32 v24, 0x1f4, v24
	v_add_nc_u32_e32 v28, 0x9c4, v47
	v_fmamk_f16 v15, v78, 0xbb9c, v23
	v_mov_b32_e32 v30, v12
	v_mad_u64_u32 v[12:13], null, s3, v38, v[4:5]
	v_mul_hi_u32 v13, 0xd1b71759, v24
	v_fmac_f16_e32 v23, 0x3b9c, v78
	v_mad_u64_u32 v[26:27], null, s2, v28, 0
	v_fmac_f16_e32 v18, 0xb8b4, v97
	v_lshlrev_b64 v[20:21], 2, v[29:30]
	v_fmac_f16_e32 v23, 0x38b4, v74
	v_add_co_u32 v4, vcc_lo, v51, v5
	v_lshrrev_b32_e32 v29, 9, v13
	v_mov_b32_e32 v35, v12
	v_fmac_f16_e32 v23, 0x34f2, v77
	v_fmac_f16_e32 v22, 0x34f2, v79
	;; [unrolled: 1-line block ×3, first 2 shown]
	v_add_co_ci_u32_e32 v5, vcc_lo, v56, v6, vcc_lo
	v_mov_b32_e32 v6, v27
	v_mul_u32_u24_e32 v27, 0x271, v29
	v_add_co_u32 v12, vcc_lo, v51, v20
	v_add_co_ci_u32_e32 v13, vcc_lo, v56, v21, vcc_lo
	v_lshlrev_b64 v[20:21], 2, v[34:35]
	v_pack_b32_f16 v23, v18, v23
	v_pack_b32_f16 v22, v22, v19
	v_mad_u64_u32 v[18:19], null, s3, v28, v[6:7]
	v_sub_nc_u32_e32 v6, v24, v27
	v_fmac_f16_e32 v25, 0x34f2, v79
	v_add_co_u32 v19, vcc_lo, v51, v20
	v_add_co_ci_u32_e32 v20, vcc_lo, v56, v21, vcc_lo
	v_mad_u32_u24 v24, 0xc35, v29, v6
	v_pack_b32_f16 v17, v25, v17
	global_store_dword v[4:5], v23, off
	global_store_dword v[12:13], v22, off
	;; [unrolled: 1-line block ×3, first 2 shown]
	v_mad_u64_u32 v[12:13], null, s2, v24, 0
	v_add_nc_u32_e32 v23, 0x271, v24
	v_add_nc_u32_e32 v25, 0x4e2, v24
	v_mov_b32_e32 v27, v18
	v_fmac_f16_e32 v15, 0xb8b4, v74
	v_fmac_f16_e32 v16, 0x38b4, v97
	v_mad_u64_u32 v[17:18], null, s2, v23, 0
	v_mov_b32_e32 v6, v13
	v_mad_u64_u32 v[19:20], null, s2, v25, 0
	v_lshlrev_b64 v[4:5], 2, v[26:27]
	v_fmac_f16_e32 v15, 0x34f2, v77
	v_mad_u64_u32 v[21:22], null, s3, v24, v[6:7]
	v_fmac_f16_e32 v16, 0x34f2, v88
	v_mov_b32_e32 v13, v18
	v_mov_b32_e32 v6, v20
	v_add_nc_u32_e32 v26, 0x753, v24
	v_add_co_u32 v4, vcc_lo, v51, v4
	v_pack_b32_f16 v18, v16, v15
	v_mad_u64_u32 v[15:16], null, s3, v23, v[13:14]
	v_mov_b32_e32 v13, v21
	v_mad_u64_u32 v[20:21], null, s3, v25, v[6:7]
	v_add_co_ci_u32_e32 v5, vcc_lo, v56, v5, vcc_lo
	v_mad_u64_u32 v[22:23], null, s2, v26, 0
	v_add_nc_u32_e32 v21, 0x9c4, v24
	global_store_dword v[4:5], v18, off
	v_lshlrev_b64 v[4:5], 2, v[12:13]
	v_mov_b32_e32 v18, v15
	v_pack_b32_f16 v11, v14, v11
	v_mad_u64_u32 v[12:13], null, s2, v21, 0
	v_mov_b32_e32 v6, v23
	v_fmac_f16_e32 v3, 0x34f2, v72
	v_add_co_u32 v4, vcc_lo, v51, v4
	v_add_co_ci_u32_e32 v5, vcc_lo, v56, v5, vcc_lo
	v_mad_u64_u32 v[15:16], null, s3, v26, v[6:7]
	v_mov_b32_e32 v6, v13
	v_lshlrev_b64 v[13:14], 2, v[17:18]
	v_lshlrev_b64 v[16:17], 2, v[19:20]
	v_fmac_f16_e32 v9, 0x34f2, v72
	v_pack_b32_f16 v8, v10, v8
	v_mad_u64_u32 v[18:19], null, s3, v21, v[6:7]
	v_mov_b32_e32 v23, v15
	v_add_co_u32 v19, vcc_lo, v51, v13
	v_pack_b32_f16 v6, v3, v2
	v_add_co_ci_u32_e32 v20, vcc_lo, v56, v14, vcc_lo
	v_mov_b32_e32 v13, v18
	v_lshlrev_b64 v[2:3], 2, v[22:23]
	v_add_co_u32 v14, vcc_lo, v51, v16
	v_pack_b32_f16 v16, v1, v0
	v_lshlrev_b64 v[0:1], 2, v[12:13]
	v_add_co_ci_u32_e32 v15, vcc_lo, v56, v17, vcc_lo
	v_add_co_u32 v2, vcc_lo, v51, v2
	v_add_co_ci_u32_e32 v3, vcc_lo, v56, v3, vcc_lo
	v_add_co_u32 v0, vcc_lo, v51, v0
	v_add_co_ci_u32_e32 v1, vcc_lo, v56, v1, vcc_lo
	v_pack_b32_f16 v7, v9, v7
	global_store_dword v[4:5], v11, off
	global_store_dword v[19:20], v6, off
	;; [unrolled: 1-line block ×5, first 2 shown]
.LBB0_15:
	s_endpgm
	.section	.rodata,"a",@progbits
	.p2align	6, 0x0
	.amdhsa_kernel fft_rtc_back_len3125_factors_5_5_5_5_5_wgs_125_tpt_125_halfLds_half_op_CI_CI_sbrr_dirReg
		.amdhsa_group_segment_fixed_size 0
		.amdhsa_private_segment_fixed_size 0
		.amdhsa_kernarg_size 104
		.amdhsa_user_sgpr_count 6
		.amdhsa_user_sgpr_private_segment_buffer 1
		.amdhsa_user_sgpr_dispatch_ptr 0
		.amdhsa_user_sgpr_queue_ptr 0
		.amdhsa_user_sgpr_kernarg_segment_ptr 1
		.amdhsa_user_sgpr_dispatch_id 0
		.amdhsa_user_sgpr_flat_scratch_init 0
		.amdhsa_user_sgpr_private_segment_size 0
		.amdhsa_wavefront_size32 1
		.amdhsa_uses_dynamic_stack 0
		.amdhsa_system_sgpr_private_segment_wavefront_offset 0
		.amdhsa_system_sgpr_workgroup_id_x 1
		.amdhsa_system_sgpr_workgroup_id_y 0
		.amdhsa_system_sgpr_workgroup_id_z 0
		.amdhsa_system_sgpr_workgroup_info 0
		.amdhsa_system_vgpr_workitem_id 0
		.amdhsa_next_free_vgpr 107
		.amdhsa_next_free_sgpr 31
		.amdhsa_reserve_vcc 1
		.amdhsa_reserve_flat_scratch 0
		.amdhsa_float_round_mode_32 0
		.amdhsa_float_round_mode_16_64 0
		.amdhsa_float_denorm_mode_32 3
		.amdhsa_float_denorm_mode_16_64 3
		.amdhsa_dx10_clamp 1
		.amdhsa_ieee_mode 1
		.amdhsa_fp16_overflow 0
		.amdhsa_workgroup_processor_mode 1
		.amdhsa_memory_ordered 1
		.amdhsa_forward_progress 0
		.amdhsa_shared_vgpr_count 0
		.amdhsa_exception_fp_ieee_invalid_op 0
		.amdhsa_exception_fp_denorm_src 0
		.amdhsa_exception_fp_ieee_div_zero 0
		.amdhsa_exception_fp_ieee_overflow 0
		.amdhsa_exception_fp_ieee_underflow 0
		.amdhsa_exception_fp_ieee_inexact 0
		.amdhsa_exception_int_div_zero 0
	.end_amdhsa_kernel
	.text
.Lfunc_end0:
	.size	fft_rtc_back_len3125_factors_5_5_5_5_5_wgs_125_tpt_125_halfLds_half_op_CI_CI_sbrr_dirReg, .Lfunc_end0-fft_rtc_back_len3125_factors_5_5_5_5_5_wgs_125_tpt_125_halfLds_half_op_CI_CI_sbrr_dirReg
                                        ; -- End function
	.section	.AMDGPU.csdata,"",@progbits
; Kernel info:
; codeLenInByte = 20616
; NumSgprs: 33
; NumVgprs: 107
; ScratchSize: 0
; MemoryBound: 0
; FloatMode: 240
; IeeeMode: 1
; LDSByteSize: 0 bytes/workgroup (compile time only)
; SGPRBlocks: 4
; VGPRBlocks: 13
; NumSGPRsForWavesPerEU: 33
; NumVGPRsForWavesPerEU: 107
; Occupancy: 9
; WaveLimiterHint : 1
; COMPUTE_PGM_RSRC2:SCRATCH_EN: 0
; COMPUTE_PGM_RSRC2:USER_SGPR: 6
; COMPUTE_PGM_RSRC2:TRAP_HANDLER: 0
; COMPUTE_PGM_RSRC2:TGID_X_EN: 1
; COMPUTE_PGM_RSRC2:TGID_Y_EN: 0
; COMPUTE_PGM_RSRC2:TGID_Z_EN: 0
; COMPUTE_PGM_RSRC2:TIDIG_COMP_CNT: 0
	.text
	.p2alignl 6, 3214868480
	.fill 48, 4, 3214868480
	.type	__hip_cuid_235003aed60fcba,@object ; @__hip_cuid_235003aed60fcba
	.section	.bss,"aw",@nobits
	.globl	__hip_cuid_235003aed60fcba
__hip_cuid_235003aed60fcba:
	.byte	0                               ; 0x0
	.size	__hip_cuid_235003aed60fcba, 1

	.ident	"AMD clang version 19.0.0git (https://github.com/RadeonOpenCompute/llvm-project roc-6.4.0 25133 c7fe45cf4b819c5991fe208aaa96edf142730f1d)"
	.section	".note.GNU-stack","",@progbits
	.addrsig
	.addrsig_sym __hip_cuid_235003aed60fcba
	.amdgpu_metadata
---
amdhsa.kernels:
  - .args:
      - .actual_access:  read_only
        .address_space:  global
        .offset:         0
        .size:           8
        .value_kind:     global_buffer
      - .offset:         8
        .size:           8
        .value_kind:     by_value
      - .actual_access:  read_only
        .address_space:  global
        .offset:         16
        .size:           8
        .value_kind:     global_buffer
      - .actual_access:  read_only
        .address_space:  global
        .offset:         24
        .size:           8
        .value_kind:     global_buffer
      - .actual_access:  read_only
        .address_space:  global
        .offset:         32
        .size:           8
        .value_kind:     global_buffer
      - .offset:         40
        .size:           8
        .value_kind:     by_value
      - .actual_access:  read_only
        .address_space:  global
        .offset:         48
        .size:           8
        .value_kind:     global_buffer
      - .actual_access:  read_only
        .address_space:  global
        .offset:         56
        .size:           8
        .value_kind:     global_buffer
      - .offset:         64
        .size:           4
        .value_kind:     by_value
      - .actual_access:  read_only
        .address_space:  global
        .offset:         72
        .size:           8
        .value_kind:     global_buffer
      - .actual_access:  read_only
        .address_space:  global
        .offset:         80
        .size:           8
        .value_kind:     global_buffer
      - .actual_access:  read_only
        .address_space:  global
        .offset:         88
        .size:           8
        .value_kind:     global_buffer
      - .actual_access:  write_only
        .address_space:  global
        .offset:         96
        .size:           8
        .value_kind:     global_buffer
    .group_segment_fixed_size: 0
    .kernarg_segment_align: 8
    .kernarg_segment_size: 104
    .language:       OpenCL C
    .language_version:
      - 2
      - 0
    .max_flat_workgroup_size: 125
    .name:           fft_rtc_back_len3125_factors_5_5_5_5_5_wgs_125_tpt_125_halfLds_half_op_CI_CI_sbrr_dirReg
    .private_segment_fixed_size: 0
    .sgpr_count:     33
    .sgpr_spill_count: 0
    .symbol:         fft_rtc_back_len3125_factors_5_5_5_5_5_wgs_125_tpt_125_halfLds_half_op_CI_CI_sbrr_dirReg.kd
    .uniform_work_group_size: 1
    .uses_dynamic_stack: false
    .vgpr_count:     107
    .vgpr_spill_count: 0
    .wavefront_size: 32
    .workgroup_processor_mode: 1
amdhsa.target:   amdgcn-amd-amdhsa--gfx1030
amdhsa.version:
  - 1
  - 2
...

	.end_amdgpu_metadata
